;; amdgpu-corpus repo=ROCm/rocFFT kind=compiled arch=gfx1201 opt=O3
	.text
	.amdgcn_target "amdgcn-amd-amdhsa--gfx1201"
	.amdhsa_code_object_version 6
	.protected	fft_rtc_fwd_len1088_factors_17_4_4_2_2_wgs_204_tpt_68_halfLds_dp_ip_CI_unitstride_sbrr_R2C_dirReg ; -- Begin function fft_rtc_fwd_len1088_factors_17_4_4_2_2_wgs_204_tpt_68_halfLds_dp_ip_CI_unitstride_sbrr_R2C_dirReg
	.globl	fft_rtc_fwd_len1088_factors_17_4_4_2_2_wgs_204_tpt_68_halfLds_dp_ip_CI_unitstride_sbrr_R2C_dirReg
	.p2align	8
	.type	fft_rtc_fwd_len1088_factors_17_4_4_2_2_wgs_204_tpt_68_halfLds_dp_ip_CI_unitstride_sbrr_R2C_dirReg,@function
fft_rtc_fwd_len1088_factors_17_4_4_2_2_wgs_204_tpt_68_halfLds_dp_ip_CI_unitstride_sbrr_R2C_dirReg: ; @fft_rtc_fwd_len1088_factors_17_4_4_2_2_wgs_204_tpt_68_halfLds_dp_ip_CI_unitstride_sbrr_R2C_dirReg
; %bb.0:
	s_load_b128 s[4:7], s[0:1], 0x0
	v_mul_u32_u24_e32 v1, 0x3c4, v0
	s_clause 0x1
	s_load_b64 s[8:9], s[0:1], 0x50
	s_load_b64 s[10:11], s[0:1], 0x18
	v_mov_b32_e32 v5, 0
	v_lshrrev_b32_e32 v1, 16, v1
	s_delay_alu instid0(VALU_DEP_1) | instskip(SKIP_3) | instid1(VALU_DEP_1)
	v_mad_co_u64_u32 v[1:2], null, ttmp9, 3, v[1:2]
	v_mov_b32_e32 v3, 0
	v_mov_b32_e32 v4, 0
	;; [unrolled: 1-line block ×4, first 2 shown]
	s_wait_kmcnt 0x0
	v_cmp_lt_u64_e64 s2, s[6:7], 2
	v_mov_b32_e32 v9, v1
	s_delay_alu instid0(VALU_DEP_2)
	s_and_b32 vcc_lo, exec_lo, s2
	s_cbranch_vccnz .LBB0_8
; %bb.1:
	s_load_b64 s[2:3], s[0:1], 0x10
	v_dual_mov_b32 v3, 0 :: v_dual_mov_b32 v8, v2
	v_dual_mov_b32 v4, 0 :: v_dual_mov_b32 v7, v1
	s_add_nc_u64 s[12:13], s[10:11], 8
	s_mov_b64 s[14:15], 1
	s_wait_kmcnt 0x0
	s_add_nc_u64 s[16:17], s[2:3], 8
	s_mov_b32 s3, 0
.LBB0_2:                                ; =>This Inner Loop Header: Depth=1
	s_load_b64 s[18:19], s[16:17], 0x0
                                        ; implicit-def: $vgpr9_vgpr10
	s_mov_b32 s2, exec_lo
	s_wait_kmcnt 0x0
	v_or_b32_e32 v6, s19, v8
	s_delay_alu instid0(VALU_DEP_1)
	v_cmpx_ne_u64_e32 0, v[5:6]
	s_wait_alu 0xfffe
	s_xor_b32 s20, exec_lo, s2
	s_cbranch_execz .LBB0_4
; %bb.3:                                ;   in Loop: Header=BB0_2 Depth=1
	s_cvt_f32_u32 s2, s18
	s_cvt_f32_u32 s21, s19
	s_sub_nc_u64 s[24:25], 0, s[18:19]
	s_wait_alu 0xfffe
	s_delay_alu instid0(SALU_CYCLE_1) | instskip(SKIP_1) | instid1(SALU_CYCLE_2)
	s_fmamk_f32 s2, s21, 0x4f800000, s2
	s_wait_alu 0xfffe
	v_s_rcp_f32 s2, s2
	s_delay_alu instid0(TRANS32_DEP_1) | instskip(SKIP_1) | instid1(SALU_CYCLE_2)
	s_mul_f32 s2, s2, 0x5f7ffffc
	s_wait_alu 0xfffe
	s_mul_f32 s21, s2, 0x2f800000
	s_wait_alu 0xfffe
	s_delay_alu instid0(SALU_CYCLE_2) | instskip(SKIP_1) | instid1(SALU_CYCLE_2)
	s_trunc_f32 s21, s21
	s_wait_alu 0xfffe
	s_fmamk_f32 s2, s21, 0xcf800000, s2
	s_cvt_u32_f32 s23, s21
	s_wait_alu 0xfffe
	s_delay_alu instid0(SALU_CYCLE_1) | instskip(SKIP_1) | instid1(SALU_CYCLE_2)
	s_cvt_u32_f32 s22, s2
	s_wait_alu 0xfffe
	s_mul_u64 s[26:27], s[24:25], s[22:23]
	s_wait_alu 0xfffe
	s_mul_hi_u32 s29, s22, s27
	s_mul_i32 s28, s22, s27
	s_mul_hi_u32 s2, s22, s26
	s_mul_i32 s30, s23, s26
	s_wait_alu 0xfffe
	s_add_nc_u64 s[28:29], s[2:3], s[28:29]
	s_mul_hi_u32 s21, s23, s26
	s_mul_hi_u32 s31, s23, s27
	s_add_co_u32 s2, s28, s30
	s_wait_alu 0xfffe
	s_add_co_ci_u32 s2, s29, s21
	s_mul_i32 s26, s23, s27
	s_add_co_ci_u32 s27, s31, 0
	s_wait_alu 0xfffe
	s_add_nc_u64 s[26:27], s[2:3], s[26:27]
	s_wait_alu 0xfffe
	v_add_co_u32 v2, s2, s22, s26
	s_delay_alu instid0(VALU_DEP_1) | instskip(SKIP_1) | instid1(VALU_DEP_1)
	s_cmp_lg_u32 s2, 0
	s_add_co_ci_u32 s23, s23, s27
	v_readfirstlane_b32 s22, v2
	s_wait_alu 0xfffe
	s_delay_alu instid0(VALU_DEP_1)
	s_mul_u64 s[24:25], s[24:25], s[22:23]
	s_wait_alu 0xfffe
	s_mul_hi_u32 s27, s22, s25
	s_mul_i32 s26, s22, s25
	s_mul_hi_u32 s2, s22, s24
	s_mul_i32 s28, s23, s24
	s_wait_alu 0xfffe
	s_add_nc_u64 s[26:27], s[2:3], s[26:27]
	s_mul_hi_u32 s21, s23, s24
	s_mul_hi_u32 s22, s23, s25
	s_wait_alu 0xfffe
	s_add_co_u32 s2, s26, s28
	s_add_co_ci_u32 s2, s27, s21
	s_mul_i32 s24, s23, s25
	s_add_co_ci_u32 s25, s22, 0
	s_wait_alu 0xfffe
	s_add_nc_u64 s[24:25], s[2:3], s[24:25]
	s_wait_alu 0xfffe
	v_add_co_u32 v2, s2, v2, s24
	s_delay_alu instid0(VALU_DEP_1) | instskip(SKIP_1) | instid1(VALU_DEP_1)
	s_cmp_lg_u32 s2, 0
	s_add_co_ci_u32 s2, s23, s25
	v_mul_hi_u32 v6, v7, v2
	s_wait_alu 0xfffe
	v_mad_co_u64_u32 v[9:10], null, v7, s2, 0
	v_mad_co_u64_u32 v[11:12], null, v8, v2, 0
	;; [unrolled: 1-line block ×3, first 2 shown]
	s_delay_alu instid0(VALU_DEP_3) | instskip(SKIP_1) | instid1(VALU_DEP_4)
	v_add_co_u32 v2, vcc_lo, v6, v9
	s_wait_alu 0xfffd
	v_add_co_ci_u32_e32 v6, vcc_lo, 0, v10, vcc_lo
	s_delay_alu instid0(VALU_DEP_2) | instskip(SKIP_1) | instid1(VALU_DEP_2)
	v_add_co_u32 v2, vcc_lo, v2, v11
	s_wait_alu 0xfffd
	v_add_co_ci_u32_e32 v2, vcc_lo, v6, v12, vcc_lo
	s_wait_alu 0xfffd
	v_add_co_ci_u32_e32 v6, vcc_lo, 0, v14, vcc_lo
	s_delay_alu instid0(VALU_DEP_2) | instskip(SKIP_1) | instid1(VALU_DEP_2)
	v_add_co_u32 v2, vcc_lo, v2, v13
	s_wait_alu 0xfffd
	v_add_co_ci_u32_e32 v6, vcc_lo, 0, v6, vcc_lo
	s_delay_alu instid0(VALU_DEP_2) | instskip(SKIP_1) | instid1(VALU_DEP_3)
	v_mul_lo_u32 v11, s19, v2
	v_mad_co_u64_u32 v[9:10], null, s18, v2, 0
	v_mul_lo_u32 v12, s18, v6
	s_delay_alu instid0(VALU_DEP_2) | instskip(NEXT) | instid1(VALU_DEP_2)
	v_sub_co_u32 v9, vcc_lo, v7, v9
	v_add3_u32 v10, v10, v12, v11
	s_delay_alu instid0(VALU_DEP_1) | instskip(SKIP_1) | instid1(VALU_DEP_1)
	v_sub_nc_u32_e32 v11, v8, v10
	s_wait_alu 0xfffd
	v_subrev_co_ci_u32_e64 v11, s2, s19, v11, vcc_lo
	v_add_co_u32 v12, s2, v2, 2
	s_wait_alu 0xf1ff
	v_add_co_ci_u32_e64 v13, s2, 0, v6, s2
	v_sub_co_u32 v14, s2, v9, s18
	v_sub_co_ci_u32_e32 v10, vcc_lo, v8, v10, vcc_lo
	s_wait_alu 0xf1ff
	v_subrev_co_ci_u32_e64 v11, s2, 0, v11, s2
	s_delay_alu instid0(VALU_DEP_3) | instskip(NEXT) | instid1(VALU_DEP_3)
	v_cmp_le_u32_e32 vcc_lo, s18, v14
	v_cmp_eq_u32_e64 s2, s19, v10
	s_wait_alu 0xfffd
	v_cndmask_b32_e64 v14, 0, -1, vcc_lo
	v_cmp_le_u32_e32 vcc_lo, s19, v11
	s_wait_alu 0xfffd
	v_cndmask_b32_e64 v15, 0, -1, vcc_lo
	v_cmp_le_u32_e32 vcc_lo, s18, v9
	;; [unrolled: 3-line block ×3, first 2 shown]
	s_wait_alu 0xfffd
	v_cndmask_b32_e64 v16, 0, -1, vcc_lo
	v_cmp_eq_u32_e32 vcc_lo, s19, v11
	s_wait_alu 0xf1ff
	s_delay_alu instid0(VALU_DEP_2)
	v_cndmask_b32_e64 v9, v16, v9, s2
	s_wait_alu 0xfffd
	v_cndmask_b32_e32 v11, v15, v14, vcc_lo
	v_add_co_u32 v14, vcc_lo, v2, 1
	s_wait_alu 0xfffd
	v_add_co_ci_u32_e32 v15, vcc_lo, 0, v6, vcc_lo
	s_delay_alu instid0(VALU_DEP_3) | instskip(SKIP_1) | instid1(VALU_DEP_2)
	v_cmp_ne_u32_e32 vcc_lo, 0, v11
	s_wait_alu 0xfffd
	v_dual_cndmask_b32 v10, v15, v13 :: v_dual_cndmask_b32 v11, v14, v12
	v_cmp_ne_u32_e32 vcc_lo, 0, v9
	s_wait_alu 0xfffd
	s_delay_alu instid0(VALU_DEP_2) | instskip(NEXT) | instid1(VALU_DEP_3)
	v_cndmask_b32_e32 v10, v6, v10, vcc_lo
	v_cndmask_b32_e32 v9, v2, v11, vcc_lo
.LBB0_4:                                ;   in Loop: Header=BB0_2 Depth=1
	s_wait_alu 0xfffe
	s_and_not1_saveexec_b32 s2, s20
	s_cbranch_execz .LBB0_6
; %bb.5:                                ;   in Loop: Header=BB0_2 Depth=1
	v_cvt_f32_u32_e32 v2, s18
	s_sub_co_i32 s20, 0, s18
	s_delay_alu instid0(VALU_DEP_1) | instskip(NEXT) | instid1(TRANS32_DEP_1)
	v_rcp_iflag_f32_e32 v2, v2
	v_mul_f32_e32 v2, 0x4f7ffffe, v2
	s_delay_alu instid0(VALU_DEP_1) | instskip(SKIP_1) | instid1(VALU_DEP_1)
	v_cvt_u32_f32_e32 v2, v2
	s_wait_alu 0xfffe
	v_mul_lo_u32 v6, s20, v2
	s_delay_alu instid0(VALU_DEP_1) | instskip(NEXT) | instid1(VALU_DEP_1)
	v_mul_hi_u32 v6, v2, v6
	v_add_nc_u32_e32 v2, v2, v6
	s_delay_alu instid0(VALU_DEP_1) | instskip(NEXT) | instid1(VALU_DEP_1)
	v_mul_hi_u32 v2, v7, v2
	v_mul_lo_u32 v6, v2, s18
	v_add_nc_u32_e32 v9, 1, v2
	s_delay_alu instid0(VALU_DEP_2) | instskip(NEXT) | instid1(VALU_DEP_1)
	v_sub_nc_u32_e32 v6, v7, v6
	v_subrev_nc_u32_e32 v10, s18, v6
	v_cmp_le_u32_e32 vcc_lo, s18, v6
	s_wait_alu 0xfffd
	s_delay_alu instid0(VALU_DEP_2) | instskip(SKIP_2) | instid1(VALU_DEP_3)
	v_cndmask_b32_e32 v6, v6, v10, vcc_lo
	v_mov_b32_e32 v10, v5
	v_cndmask_b32_e32 v2, v2, v9, vcc_lo
	v_cmp_le_u32_e32 vcc_lo, s18, v6
	s_delay_alu instid0(VALU_DEP_2) | instskip(SKIP_1) | instid1(VALU_DEP_1)
	v_add_nc_u32_e32 v9, 1, v2
	s_wait_alu 0xfffd
	v_cndmask_b32_e32 v9, v2, v9, vcc_lo
.LBB0_6:                                ;   in Loop: Header=BB0_2 Depth=1
	s_wait_alu 0xfffe
	s_or_b32 exec_lo, exec_lo, s2
	s_load_b64 s[20:21], s[12:13], 0x0
	v_mul_lo_u32 v2, v10, s18
	v_mul_lo_u32 v6, v9, s19
	v_mad_co_u64_u32 v[11:12], null, v9, s18, 0
	s_add_nc_u64 s[14:15], s[14:15], 1
	s_add_nc_u64 s[12:13], s[12:13], 8
	s_wait_alu 0xfffe
	v_cmp_ge_u64_e64 s2, s[14:15], s[6:7]
	s_add_nc_u64 s[16:17], s[16:17], 8
	s_delay_alu instid0(VALU_DEP_2) | instskip(NEXT) | instid1(VALU_DEP_3)
	v_add3_u32 v2, v12, v6, v2
	v_sub_co_u32 v6, vcc_lo, v7, v11
	s_wait_alu 0xfffd
	s_delay_alu instid0(VALU_DEP_2) | instskip(SKIP_3) | instid1(VALU_DEP_2)
	v_sub_co_ci_u32_e32 v2, vcc_lo, v8, v2, vcc_lo
	s_and_b32 vcc_lo, exec_lo, s2
	s_wait_kmcnt 0x0
	v_mul_lo_u32 v7, s21, v6
	v_mul_lo_u32 v2, s20, v2
	v_mad_co_u64_u32 v[3:4], null, s20, v6, v[3:4]
	s_delay_alu instid0(VALU_DEP_1)
	v_add3_u32 v4, v7, v4, v2
	s_wait_alu 0xfffe
	s_cbranch_vccnz .LBB0_8
; %bb.7:                                ;   in Loop: Header=BB0_2 Depth=1
	v_dual_mov_b32 v7, v9 :: v_dual_mov_b32 v8, v10
	s_branch .LBB0_2
.LBB0_8:
	s_lshl_b64 s[2:3], s[6:7], 3
	v_mul_hi_u32 v2, 0xaaaaaaab, v1
	s_wait_alu 0xfffe
	s_add_nc_u64 s[2:3], s[10:11], s[2:3]
	s_load_b64 s[0:1], s[0:1], 0x20
	s_load_b64 s[2:3], s[2:3], 0x0
	v_mul_hi_u32 v5, 0x3c3c3c4, v0
	s_delay_alu instid0(VALU_DEP_2) | instskip(NEXT) | instid1(VALU_DEP_1)
	v_lshrrev_b32_e32 v2, 1, v2
	v_lshl_add_u32 v6, v2, 1, v2
	s_delay_alu instid0(VALU_DEP_1)
	v_sub_nc_u32_e32 v1, v1, v6
	s_wait_kmcnt 0x0
	v_cmp_gt_u64_e32 vcc_lo, s[0:1], v[9:10]
	v_mul_lo_u32 v7, s2, v10
	v_mul_lo_u32 v8, s3, v9
	v_mad_co_u64_u32 v[2:3], null, s2, v9, v[3:4]
	v_mul_u32_u24_e32 v4, 0x44, v5
	v_mul_u32_u24_e32 v1, 0x441, v1
	s_delay_alu instid0(VALU_DEP_2) | instskip(NEXT) | instid1(VALU_DEP_4)
	v_sub_nc_u32_e32 v68, v0, v4
	v_add3_u32 v3, v8, v3, v7
	s_delay_alu instid0(VALU_DEP_3) | instskip(NEXT) | instid1(VALU_DEP_3)
	v_lshlrev_b32_e32 v150, 4, v1
	v_lshlrev_b32_e32 v147, 4, v68
	s_delay_alu instid0(VALU_DEP_3)
	v_lshlrev_b64_e32 v[134:135], 4, v[2:3]
	s_and_saveexec_b32 s1, vcc_lo
	s_cbranch_execz .LBB0_10
; %bb.9:
	v_mov_b32_e32 v69, 0
	s_delay_alu instid0(VALU_DEP_2) | instskip(SKIP_2) | instid1(VALU_DEP_3)
	v_add_co_u32 v2, s0, s8, v134
	s_wait_alu 0xf1ff
	v_add_co_ci_u32_e64 v3, s0, s9, v135, s0
	v_lshlrev_b64_e32 v[0:1], 4, v[68:69]
	v_add3_u32 v64, 0, v150, v147
	s_delay_alu instid0(VALU_DEP_2) | instskip(SKIP_1) | instid1(VALU_DEP_3)
	v_add_co_u32 v60, s0, v2, v0
	s_wait_alu 0xf1ff
	v_add_co_ci_u32_e64 v61, s0, v3, v1, s0
	s_clause 0xf
	global_load_b128 v[0:3], v[60:61], off
	global_load_b128 v[4:7], v[60:61], off offset:1088
	global_load_b128 v[8:11], v[60:61], off offset:2176
	;; [unrolled: 1-line block ×15, first 2 shown]
	s_wait_loadcnt 0xf
	ds_store_b128 v64, v[0:3]
	s_wait_loadcnt 0xe
	ds_store_b128 v64, v[4:7] offset:1088
	s_wait_loadcnt 0xd
	ds_store_b128 v64, v[8:11] offset:2176
	;; [unrolled: 2-line block ×15, first 2 shown]
.LBB0_10:
	s_wait_alu 0xfffe
	s_or_b32 exec_lo, exec_lo, s1
	v_add_nc_u32_e32 v148, 0, v150
	v_add_nc_u32_e32 v0, 0, v147
	global_wb scope:SCOPE_SE
	s_wait_dscnt 0x0
	s_barrier_signal -1
	s_barrier_wait -1
	v_add_nc_u32_e32 v146, v148, v147
	v_add_nc_u32_e32 v149, v0, v150
	global_inv scope:SCOPE_SE
	s_mov_b32 s33, exec_lo
	ds_load_b128 v[8:11], v146
	ds_load_b128 v[36:39], v149 offset:1024
	ds_load_b128 v[40:43], v149 offset:2048
	;; [unrolled: 1-line block ×16, first 2 shown]
	global_wb scope:SCOPE_SE
	s_wait_dscnt 0x0
	s_barrier_signal -1
	s_barrier_wait -1
	global_inv scope:SCOPE_SE
	v_cmpx_gt_u32_e32 64, v68
	s_cbranch_execz .LBB0_12
; %bb.11:
	v_add_f64_e32 v[72:73], v[10:11], v[38:39]
	v_add_f64_e32 v[74:75], v[8:9], v[36:37]
	;; [unrolled: 1-line block ×3, first 2 shown]
	v_add_f64_e64 v[118:119], v[38:39], -v[2:3]
	s_mov_b32 s20, 0x7c9e640b
	s_mov_b32 s0, 0x6ed5f1bb
	;; [unrolled: 1-line block ×14, first 2 shown]
	s_wait_alu 0xfffe
	s_mov_b32 s42, s6
	s_mov_b32 s38, s28
	v_add_f64_e32 v[151:152], v[42:43], v[6:7]
	v_add_f64_e64 v[144:145], v[42:43], -v[6:7]
	s_mov_b32 s14, 0x3259b75e
	s_mov_b32 s30, 0xeb564b22
	s_mov_b32 s44, 0xc61f0d01
	s_mov_b32 s50, 0x923c349f
	s_mov_b32 s16, 0x2b2883cd
	s_mov_b32 s2, 0x75d4884
	s_mov_b32 s18, 0x370991
	s_mov_b32 s26, 0x2a9d6da3
	s_mov_b32 s24, 0x5d8e7cdc
	s_mov_b32 s22, 0xacd6c6b4
	s_mov_b32 s15, 0x3fb79ee6
	s_mov_b32 s31, 0xbfefdd0d
	s_mov_b32 s45, 0xbfd183b1
	s_mov_b32 s51, 0x3feec746
	s_mov_b32 s17, 0x3fdc86fa
	s_mov_b32 s3, 0x3fe7a5f6
	v_add_f64_e32 v[72:73], v[72:73], v[42:43]
	v_add_f64_e32 v[74:75], v[74:75], v[40:41]
	v_mul_f64_e32 v[106:107], s[12:13], v[104:105]
	v_mul_f64_e32 v[102:103], s[10:11], v[104:105]
	;; [unrolled: 1-line block ×5, first 2 shown]
	s_mov_b32 s19, 0x3fedd6d0
	s_mov_b32 s27, 0xbfe58eea
	;; [unrolled: 1-line block ×9, first 2 shown]
	s_wait_alu 0xfffe
	s_mov_b32 s34, s22
	v_add_f64_e32 v[78:79], v[62:63], v[34:35]
	v_add_f64_e32 v[84:85], v[66:67], v[30:31]
	v_add_f64_e64 v[80:81], v[62:63], -v[34:35]
	v_add_f64_e32 v[142:143], v[46:47], v[14:15]
	v_mul_f64_e32 v[42:43], s[14:15], v[104:105]
	v_mul_f64_e32 v[38:39], s[16:17], v[104:105]
	v_mul_f64_e32 v[122:123], s[34:35], v[118:119]
	v_mul_f64_e32 v[114:115], s[52:53], v[118:119]
	v_mul_f64_e32 v[112:113], s[30:31], v[118:119]
	v_mul_f64_e32 v[108:109], s[26:27], v[118:119]
	v_mul_f64_e32 v[124:125], s[18:19], v[151:152]
	v_mul_f64_e32 v[132:133], s[16:17], v[151:152]
	scratch_store_b64 off, v[134:135], off  ; 8-byte Folded Spill
	v_mul_f64_e32 v[134:135], s[46:47], v[144:145]
	v_mul_f64_e32 v[138:139], s[44:45], v[151:152]
	;; [unrolled: 1-line block ×3, first 2 shown]
	s_mov_b32 s49, 0x3fefdd0d
	s_mov_b32 s41, 0x3fe58eea
	;; [unrolled: 1-line block ×5, first 2 shown]
	v_add_f64_e32 v[72:73], v[72:73], v[46:47]
	v_add_f64_e32 v[74:75], v[74:75], v[44:45]
	v_add_f64_e64 v[46:47], v[46:47], -v[14:15]
	s_mov_b32 s36, s24
	v_add_f64_e32 v[88:89], v[58:59], v[26:27]
	v_add_f64_e64 v[82:83], v[56:57], -v[24:25]
	v_add_f64_e32 v[94:95], v[50:51], v[18:19]
	v_mul_f64_e32 v[157:158], s[10:11], v[151:152]
	v_mul_f64_e32 v[165:166], s[12:13], v[151:152]
	;; [unrolled: 1-line block ×5, first 2 shown]
	v_add_f64_e64 v[76:77], v[64:65], -v[28:29]
	v_add_f64_e32 v[92:93], v[54:55], v[22:23]
	v_add_f64_e64 v[86:87], v[52:53], -v[20:21]
	v_add_f64_e64 v[90:91], v[48:49], -v[16:17]
	v_mul_f64_e32 v[126:127], s[36:37], v[144:145]
	v_mul_f64_e32 v[159:160], s[28:29], v[144:145]
	;; [unrolled: 1-line block ×10, first 2 shown]
	v_add_f64_e32 v[72:73], v[72:73], v[50:51]
	v_add_f64_e32 v[74:75], v[74:75], v[48:49]
	v_add_f64_e64 v[50:51], v[50:51], -v[18:19]
	v_mul_f64_e32 v[130:131], s[30:31], v[46:47]
	v_add_f64_e32 v[48:49], v[48:49], v[16:17]
	v_mul_f64_e32 v[163:164], s[40:41], v[46:47]
	v_mul_f64_e32 v[189:190], s[2:3], v[94:95]
	v_mul_f64_e32 v[183:184], s[50:51], v[46:47]
	v_mul_f64_e32 v[185:186], s[22:23], v[46:47]
	v_mul_f64_e32 v[187:188], s[42:43], v[46:47]
	v_add_f64_e32 v[72:73], v[72:73], v[54:55]
	v_add_f64_e32 v[74:75], v[74:75], v[52:53]
	;; [unrolled: 1-line block ×3, first 2 shown]
	v_add_f64_e64 v[54:55], v[54:55], -v[22:23]
	s_delay_alu instid0(VALU_DEP_4) | instskip(NEXT) | instid1(VALU_DEP_4)
	v_add_f64_e32 v[72:73], v[72:73], v[58:59]
	v_add_f64_e32 v[74:75], v[74:75], v[56:57]
	;; [unrolled: 1-line block ×3, first 2 shown]
	v_add_f64_e64 v[58:59], v[58:59], -v[26:27]
	s_delay_alu instid0(VALU_DEP_4) | instskip(NEXT) | instid1(VALU_DEP_4)
	v_add_f64_e32 v[96:97], v[72:73], v[66:67]
	v_add_f64_e32 v[98:99], v[74:75], v[64:65]
	v_add_f64_e64 v[72:73], v[60:61], -v[32:33]
	v_add_f64_e32 v[74:75], v[60:61], v[32:33]
	v_add_f64_e64 v[66:67], v[66:67], -v[30:31]
	v_add_f64_e32 v[64:65], v[64:65], v[28:29]
	v_add_f64_e32 v[100:101], v[96:97], v[62:63]
	;; [unrolled: 1-line block ×3, first 2 shown]
	v_add_f64_e64 v[96:97], v[36:37], -v[0:1]
	v_add_f64_e32 v[36:37], v[36:37], v[0:1]
	v_add_f64_e64 v[62:63], v[40:41], -v[4:5]
	v_add_f64_e32 v[40:41], v[40:41], v[4:5]
	;; [unrolled: 2-line block ×3, first 2 shown]
	v_add_f64_e32 v[140:141], v[100:101], v[34:35]
	v_add_f64_e32 v[153:154], v[98:99], v[32:33]
	v_mul_f64_e32 v[100:101], s[0:1], v[104:105]
	v_mul_f64_e32 v[98:99], s[44:45], v[104:105]
	;; [unrolled: 1-line block ×5, first 2 shown]
	v_fma_f64 v[191:192], v[96:97], s[22:23], v[106:107]
	v_fma_f64 v[106:107], v[96:97], s[34:35], v[106:107]
	;; [unrolled: 1-line block ×7, first 2 shown]
	v_fma_f64 v[110:111], v[36:37], s[16:17], -v[110:111]
	v_fma_f64 v[199:200], v[96:97], s[48:49], v[42:43]
	v_fma_f64 v[42:43], v[96:97], s[30:31], v[42:43]
	;; [unrolled: 1-line block ×4, first 2 shown]
	v_fma_f64 v[120:121], v[36:37], s[10:11], -v[120:121]
	v_fma_f64 v[116:117], v[36:37], s[0:1], -v[116:117]
	v_fma_f64 v[207:208], v[36:37], s[44:45], v[114:115]
	v_fma_f64 v[114:115], v[36:37], s[44:45], -v[114:115]
	v_fma_f64 v[209:210], v[36:37], s[14:15], v[112:113]
	;; [unrolled: 2-line block ×4, first 2 shown]
	v_fma_f64 v[223:224], v[40:41], s[16:17], v[134:135]
	v_fma_f64 v[132:133], v[62:63], s[46:47], v[132:133]
	;; [unrolled: 1-line block ×3, first 2 shown]
	v_fma_f64 v[243:244], v[40:41], s[0:1], -v[173:174]
	v_fma_f64 v[219:220], v[60:61], s[28:29], v[128:129]
	v_fma_f64 v[128:129], v[60:61], s[38:39], v[128:129]
	;; [unrolled: 1-line block ×3, first 2 shown]
	v_fma_f64 v[134:135], v[40:41], s[16:17], -v[134:135]
	v_fma_f64 v[136:137], v[60:61], s[30:31], v[136:137]
	v_fma_f64 v[138:139], v[62:63], s[50:51], v[138:139]
	v_add_f64_e32 v[155:156], v[140:141], v[30:31]
	v_add_f64_e32 v[153:154], v[153:154], v[28:29]
	v_mul_f64_e32 v[30:31], s[50:51], v[144:145]
	v_fma_f64 v[195:196], v[96:97], s[6:7], v[100:101]
	v_mul_f64_e32 v[140:141], s[18:19], v[142:143]
	v_fma_f64 v[100:101], v[96:97], s[42:43], v[100:101]
	v_fma_f64 v[197:198], v[96:97], s[50:51], v[98:99]
	;; [unrolled: 1-line block ×4, first 2 shown]
	v_add_f64_e32 v[191:192], v[10:11], v[191:192]
	v_add_f64_e32 v[106:107], v[10:11], v[106:107]
	;; [unrolled: 1-line block ×7, first 2 shown]
	v_mul_f64_e32 v[28:29], s[24:25], v[46:47]
	v_fma_f64 v[241:242], v[62:63], s[42:43], v[171:172]
	v_fma_f64 v[247:248], v[62:63], s[30:31], v[177:178]
	;; [unrolled: 1-line block ×4, first 2 shown]
	v_add_f64_e32 v[120:121], v[8:9], v[120:121]
	v_add_f64_e32 v[116:117], v[8:9], v[116:117]
	;; [unrolled: 1-line block ×6, first 2 shown]
	v_mul_f64_e32 v[118:119], s[38:39], v[46:47]
	v_mul_f64_e32 v[142:143], s[16:17], v[142:143]
	;; [unrolled: 1-line block ×4, first 2 shown]
	v_fma_f64 v[217:218], v[40:41], s[18:19], v[126:127]
	v_fma_f64 v[126:127], v[40:41], s[18:19], -v[126:127]
	v_fma_f64 v[245:246], v[60:61], s[22:23], v[175:176]
	v_fma_f64 v[130:131], v[44:45], s[14:15], -v[130:131]
	v_add_f64_e32 v[114:115], v[8:9], v[114:115]
	v_fma_f64 v[233:234], v[60:61], s[40:41], v[161:162]
	v_fma_f64 v[235:236], v[62:63], s[34:35], v[165:166]
	v_add_f64_e32 v[26:27], v[155:156], v[26:27]
	v_add_f64_e32 v[24:25], v[153:154], v[24:25]
	v_fma_f64 v[153:154], v[96:97], s[40:41], v[34:35]
	v_fma_f64 v[34:35], v[96:97], s[26:27], v[34:35]
	;; [unrolled: 1-line block ×5, first 2 shown]
	v_fma_f64 v[122:123], v[36:37], s[12:13], -v[122:123]
	v_fma_f64 v[36:37], v[36:37], s[18:19], -v[104:105]
	v_fma_f64 v[104:105], v[62:63], s[24:25], v[124:125]
	v_fma_f64 v[124:125], v[62:63], s[36:37], v[124:125]
	;; [unrolled: 1-line block ×3, first 2 shown]
	v_add_f64_e32 v[195:196], v[10:11], v[195:196]
	v_fma_f64 v[231:232], v[60:61], s[36:37], v[140:141]
	v_add_f64_e32 v[100:101], v[10:11], v[100:101]
	v_add_f64_e32 v[197:198], v[10:11], v[197:198]
	;; [unrolled: 1-line block ×7, first 2 shown]
	v_mul_f64_e32 v[243:244], s[10:11], v[94:95]
	v_add_f64_e32 v[120:121], v[134:135], v[120:121]
	v_fma_f64 v[237:238], v[40:41], s[12:13], -v[167:168]
	v_fma_f64 v[239:240], v[60:61], s[50:51], v[169:170]
	v_fma_f64 v[249:250], v[40:41], s[14:15], -v[179:180]
	v_add_f64_e32 v[38:39], v[241:242], v[38:39]
	v_fma_f64 v[251:252], v[60:61], s[42:43], v[181:182]
	v_fma_f64 v[165:166], v[62:63], s[22:23], v[165:166]
	;; [unrolled: 1-line block ×11, first 2 shown]
	v_add_f64_e32 v[22:23], v[26:27], v[22:23]
	v_add_f64_e32 v[20:21], v[24:25], v[20:21]
	v_fma_f64 v[24:25], v[40:41], s[44:45], -v[30:31]
	v_add_f64_e32 v[153:154], v[10:11], v[153:154]
	v_add_f64_e32 v[34:35], v[10:11], v[34:35]
	;; [unrolled: 1-line block ×4, first 2 shown]
	v_fma_f64 v[26:27], v[60:61], s[24:25], v[140:141]
	v_fma_f64 v[30:31], v[62:63], s[28:29], v[157:158]
	v_add_f64_e32 v[104:105], v[104:105], v[191:192]
	v_add_f64_e32 v[106:107], v[124:125], v[106:107]
	;; [unrolled: 1-line block ×4, first 2 shown]
	v_mul_f64_e32 v[227:228], s[0:1], v[94:95]
	v_mul_f64_e32 v[229:230], s[6:7], v[50:51]
	v_fma_f64 v[140:141], v[40:41], s[10:11], -v[159:160]
	v_fma_f64 v[157:158], v[62:63], s[38:39], v[157:158]
	v_add_f64_e32 v[96:97], v[8:9], v[96:97]
	v_add_f64_e32 v[122:123], v[8:9], v[122:123]
	v_mul_f64_e32 v[191:192], s[0:1], v[92:93]
	v_add_f64_e32 v[100:101], v[138:139], v[100:101]
	v_mul_f64_e32 v[138:139], s[18:19], v[92:93]
	v_add_f64_e32 v[193:194], v[225:226], v[193:194]
	v_add_f64_e32 v[69:70], v[69:70], v[203:204]
	;; [unrolled: 1-line block ×3, first 2 shown]
	v_fma_f64 v[62:63], v[62:63], s[40:41], v[151:152]
	v_fma_f64 v[151:152], v[60:61], s[20:21], v[142:143]
	;; [unrolled: 1-line block ×3, first 2 shown]
	v_fma_f64 v[142:143], v[40:41], s[2:3], -v[144:145]
	v_fma_f64 v[159:160], v[40:41], s[10:11], v[159:160]
	v_fma_f64 v[40:41], v[40:41], s[2:3], v[144:145]
	;; [unrolled: 1-line block ×3, first 2 shown]
	v_fma_f64 v[118:119], v[44:45], s[10:11], -v[118:119]
	v_add_f64_e32 v[207:208], v[8:9], v[207:208]
	v_add_f64_e32 v[209:210], v[8:9], v[209:210]
	v_add_f64_e32 v[112:113], v[8:9], v[112:113]
	v_add_f64_e32 v[211:212], v[8:9], v[211:212]
	v_add_f64_e32 v[213:214], v[8:9], v[213:214]
	v_add_f64_e32 v[18:19], v[22:23], v[18:19]
	v_add_f64_e32 v[16:17], v[20:21], v[16:17]
	v_fma_f64 v[20:21], v[44:45], s[18:19], v[28:29]
	v_fma_f64 v[22:23], v[44:45], s[18:19], -v[28:29]
	v_add_f64_e32 v[24:25], v[24:25], v[116:117]
	v_mul_f64_e32 v[116:117], s[24:25], v[54:55]
	v_add_f64_e32 v[34:35], v[247:248], v[34:35]
	v_mul_f64_e32 v[247:248], s[38:39], v[50:51]
	;; [unrolled: 2-line block ×3, first 2 shown]
	v_add_f64_e32 v[104:105], v[219:220], v[104:105]
	v_fma_f64 v[219:220], v[90:91], s[26:27], v[189:190]
	v_add_f64_e32 v[106:107], v[128:129], v[106:107]
	v_fma_f64 v[189:190], v[90:91], s[40:41], v[189:190]
	v_fma_f64 v[225:226], v[90:91], s[42:43], v[227:228]
	v_fma_f64 v[203:204], v[48:49], s[0:1], v[229:230]
	v_fma_f64 v[227:228], v[90:91], s[6:7], v[227:228]
	v_add_f64_e32 v[195:196], v[231:232], v[195:196]
	v_fma_f64 v[231:232], v[90:91], s[28:29], v[243:244]
	v_fma_f64 v[28:29], v[44:45], s[2:3], -v[163:164]
	v_fma_f64 v[163:164], v[44:45], s[2:3], v[163:164]
	v_add_f64_e32 v[108:109], v[8:9], v[108:109]
	v_add_f64_e32 v[215:216], v[8:9], v[215:216]
	;; [unrolled: 1-line block ×3, first 2 shown]
	v_fma_f64 v[32:33], v[44:45], s[44:45], -v[183:184]
	v_fma_f64 v[36:37], v[44:45], s[44:45], v[183:184]
	v_fma_f64 v[183:184], v[44:45], s[12:13], -v[185:186]
	v_fma_f64 v[185:186], v[44:45], s[12:13], v[185:186]
	v_add_f64_e32 v[96:97], v[217:218], v[96:97]
	v_mul_f64_e32 v[124:125], s[16:17], v[88:89]
	v_add_f64_e32 v[122:123], v[126:127], v[122:123]
	v_add_f64_e32 v[30:31], v[30:31], v[98:99]
	v_mul_f64_e32 v[98:99], s[12:13], v[88:89]
	v_add_f64_e32 v[114:115], v[140:141], v[114:115]
	v_mul_f64_e32 v[140:141], s[34:35], v[58:59]
	;; [unrolled: 2-line block ×3, first 2 shown]
	v_add_f64_e32 v[120:121], v[130:131], v[120:121]
	v_add_f64_e32 v[14:15], v[18:19], v[14:15]
	;; [unrolled: 1-line block ×3, first 2 shown]
	v_fma_f64 v[16:17], v[44:45], s[0:1], -v[187:188]
	v_fma_f64 v[18:19], v[44:45], s[0:1], v[187:188]
	v_fma_f64 v[187:188], v[44:45], s[16:17], -v[46:47]
	v_fma_f64 v[44:45], v[44:45], s[16:17], v[46:47]
	v_mul_f64_e32 v[46:47], s[40:41], v[50:51]
	v_fma_f64 v[229:230], v[48:49], s[0:1], -v[229:230]
	v_add_f64_e32 v[20:21], v[20:21], v[205:206]
	v_fma_f64 v[205:206], v[48:49], s[10:11], v[247:248]
	v_add_f64_e32 v[22:23], v[22:23], v[24:25]
	v_fma_f64 v[247:248], v[48:49], s[10:11], -v[247:248]
	v_add_f64_e32 v[104:105], v[219:220], v[104:105]
	v_fma_f64 v[219:220], v[86:87], s[6:7], v[191:192]
	v_add_f64_e32 v[106:107], v[189:190], v[106:107]
	v_fma_f64 v[191:192], v[86:87], s[42:43], v[191:192]
	;; [unrolled: 2-line block ×4, first 2 shown]
	v_add_f64_e32 v[69:70], v[203:204], v[69:70]
	v_add_f64_e32 v[102:103], v[227:228], v[102:103]
	v_fma_f64 v[138:139], v[86:87], s[24:25], v[138:139]
	v_add_f64_e32 v[195:196], v[231:232], v[195:196]
	v_fma_f64 v[231:232], v[86:87], s[30:31], v[253:254]
	v_mul_f64_e32 v[217:218], s[42:43], v[54:55]
	v_mul_f64_e32 v[221:222], s[44:45], v[84:85]
	v_add_f64_e32 v[112:113], v[237:238], v[112:113]
	v_mul_f64_e32 v[237:238], s[40:41], v[66:67]
	v_add_f64_e32 v[8:9], v[142:143], v[8:9]
	v_add_f64_e32 v[165:166], v[165:166], v[199:200]
	v_mul_f64_e32 v[199:200], s[20:21], v[50:51]
	v_add_f64_e32 v[171:172], v[171:172], v[201:202]
	v_mul_f64_e32 v[201:202], s[12:13], v[84:85]
	v_add_f64_e32 v[96:97], v[144:145], v[96:97]
	v_add_f64_e32 v[118:119], v[118:119], v[122:123]
	;; [unrolled: 1-line block ×3, first 2 shown]
	v_fma_f64 v[243:244], v[90:91], s[38:39], v[243:244]
	v_mul_f64_e32 v[24:25], s[36:37], v[50:51]
	v_mul_f64_e32 v[203:204], s[50:51], v[50:51]
	v_fma_f64 v[116:117], v[52:53], s[18:19], -v[116:117]
	v_mul_f64_e32 v[126:127], s[46:47], v[58:59]
	v_mul_f64_e32 v[142:143], s[48:49], v[54:55]
	v_add_f64_e32 v[159:160], v[159:160], v[207:208]
	v_fma_f64 v[144:145], v[48:49], s[2:3], v[46:47]
	v_fma_f64 v[46:47], v[48:49], s[2:3], -v[46:47]
	v_add_f64_e32 v[120:121], v[229:230], v[120:121]
	v_add_f64_e32 v[167:168], v[167:168], v[209:210]
	;; [unrolled: 1-line block ×4, first 2 shown]
	v_mul_f64_e32 v[247:248], s[34:35], v[50:51]
	v_add_f64_e32 v[104:105], v[219:220], v[104:105]
	v_fma_f64 v[219:220], v[82:83], s[20:21], v[124:125]
	v_add_f64_e32 v[106:107], v[191:192], v[106:107]
	v_fma_f64 v[124:125], v[82:83], s[46:47], v[124:125]
	v_mul_f64_e32 v[50:51], s[30:31], v[50:51]
	v_add_f64_e32 v[193:194], v[245:246], v[193:194]
	v_fma_f64 v[245:246], v[82:83], s[22:23], v[98:99]
	v_add_f64_e32 v[69:70], v[225:226], v[69:70]
	v_fma_f64 v[225:226], v[56:57], s[12:13], v[140:141]
	;; [unrolled: 2-line block ×3, first 2 shown]
	v_add_f64_e32 v[195:196], v[231:232], v[195:196]
	v_add_f64_e32 v[179:180], v[179:180], v[213:214]
	v_mul_f64_e32 v[213:214], s[34:35], v[54:55]
	v_add_f64_e32 v[40:41], v[40:41], v[215:216]
	v_add_f64_e32 v[32:33], v[32:33], v[112:113]
	v_mul_f64_e32 v[112:113], s[44:45], v[94:95]
	v_mul_f64_e32 v[229:230], s[40:41], v[54:55]
	v_fma_f64 v[253:254], v[86:87], s[48:49], v[253:254]
	v_mul_f64_e32 v[191:192], s[28:29], v[54:55]
	v_fma_f64 v[140:141], v[56:57], s[12:13], -v[140:141]
	v_add_f64_e32 v[8:9], v[187:188], v[8:9]
	v_add_f64_e32 v[157:158], v[161:162], v[157:158]
	v_mul_f64_e32 v[223:224], s[52:53], v[66:67]
	v_add_f64_e32 v[26:27], v[243:244], v[26:27]
	v_mul_f64_e32 v[209:210], s[26:27], v[58:59]
	;; [unrolled: 2-line block ×3, first 2 shown]
	v_add_f64_e32 v[28:29], v[28:29], v[114:115]
	v_fma_f64 v[114:115], v[48:49], s[16:17], -v[199:200]
	v_add_f64_e32 v[34:35], v[251:252], v[34:35]
	v_add_f64_e32 v[96:97], v[144:145], v[96:97]
	v_fma_f64 v[144:145], v[52:53], s[0:1], v[217:218]
	v_add_f64_e32 v[46:47], v[46:47], v[118:119]
	v_mul_f64_e32 v[118:119], s[20:21], v[54:55]
	v_fma_f64 v[217:218], v[52:53], s[0:1], -v[217:218]
	v_mul_f64_e32 v[54:55], s[52:53], v[54:55]
	v_add_f64_e32 v[116:117], v[116:117], v[120:121]
	v_fma_f64 v[120:121], v[76:77], s[50:51], v[221:222]
	v_add_f64_e32 v[104:105], v[219:220], v[104:105]
	v_fma_f64 v[251:252], v[48:49], s[12:13], -v[247:248]
	v_add_f64_e32 v[106:107], v[124:125], v[106:107]
	v_fma_f64 v[124:125], v[64:65], s[2:3], v[237:238]
	v_fma_f64 v[161:162], v[48:49], s[14:15], -v[50:51]
	v_add_f64_e32 v[193:194], v[245:246], v[193:194]
	v_fma_f64 v[245:246], v[76:77], s[22:23], v[201:202]
	v_add_f64_e32 v[69:70], v[225:226], v[69:70]
	v_fma_f64 v[199:200], v[48:49], s[16:17], v[199:200]
	v_add_f64_e32 v[159:160], v[163:164], v[159:160]
	v_add_f64_e32 v[138:139], v[138:139], v[195:196]
	v_fma_f64 v[195:196], v[48:49], s[44:45], -v[203:204]
	v_fma_f64 v[203:204], v[48:49], s[44:45], v[203:204]
	v_add_f64_e32 v[163:164], v[169:170], v[165:166]
	v_add_f64_e32 v[36:37], v[36:37], v[167:168]
	;; [unrolled: 1-line block ×5, first 2 shown]
	v_mul_f64_e32 v[171:172], s[24:25], v[58:59]
	v_mul_f64_e32 v[181:182], s[50:51], v[58:59]
	v_add_f64_e32 v[40:41], v[44:45], v[40:41]
	v_mul_f64_e32 v[134:135], s[48:49], v[80:81]
	v_add_f64_e32 v[20:21], v[205:206], v[20:21]
	v_add_f64_e32 v[26:27], v[253:254], v[26:27]
	v_fma_f64 v[253:254], v[48:49], s[18:19], -v[24:25]
	v_fma_f64 v[24:25], v[48:49], s[18:19], v[24:25]
	v_fma_f64 v[205:206], v[52:53], s[14:15], v[142:143]
	v_fma_f64 v[142:143], v[52:53], s[14:15], -v[142:143]
	v_add_f64_e32 v[28:29], v[114:115], v[28:29]
	v_fma_f64 v[114:115], v[52:53], s[12:13], -v[213:214]
	v_fma_f64 v[231:232], v[64:65], s[44:45], v[223:224]
	v_fma_f64 v[223:224], v[64:65], s[44:45], -v[223:224]
	v_add_f64_e32 v[10:11], v[151:152], v[10:11]
	v_fma_f64 v[151:152], v[52:53], s[16:17], -v[118:119]
	v_add_f64_e32 v[46:47], v[217:218], v[46:47]
	v_fma_f64 v[217:218], v[56:57], s[16:17], v[126:127]
	v_fma_f64 v[126:127], v[56:57], s[16:17], -v[126:127]
	v_add_f64_e32 v[116:117], v[140:141], v[116:117]
	v_fma_f64 v[140:141], v[90:91], s[50:51], v[112:113]
	v_fma_f64 v[112:113], v[90:91], s[52:53], v[112:113]
	v_add_f64_e32 v[104:105], v[120:121], v[104:105]
	v_add_f64_e32 v[167:168], v[185:186], v[173:174]
	;; [unrolled: 1-line block ×3, first 2 shown]
	v_fma_f64 v[161:162], v[52:53], s[44:45], -v[54:55]
	v_fma_f64 v[153:154], v[52:53], s[2:3], -v[229:230]
	v_add_f64_e32 v[69:70], v[124:125], v[69:70]
	v_fma_f64 v[124:125], v[48:49], s[12:13], v[247:248]
	v_fma_f64 v[48:49], v[48:49], s[14:15], v[50:51]
	v_add_f64_e32 v[120:121], v[245:246], v[138:139]
	v_mul_f64_e32 v[138:139], s[38:39], v[58:59]
	v_mul_f64_e32 v[58:59], s[42:43], v[58:59]
	v_fma_f64 v[175:176], v[52:53], s[10:11], -v[191:192]
	v_fma_f64 v[185:186], v[52:53], s[12:13], v[213:214]
	v_mul_f64_e32 v[207:208], s[16:17], v[94:95]
	v_mul_f64_e32 v[100:101], s[18:19], v[94:95]
	;; [unrolled: 1-line block ×4, first 2 shown]
	v_add_f64_e32 v[110:111], v[183:184], v[110:111]
	v_fma_f64 v[183:184], v[56:57], s[2:3], v[209:210]
	v_fma_f64 v[219:220], v[74:75], s[14:15], v[134:135]
	v_fma_f64 v[134:135], v[74:75], s[14:15], -v[134:135]
	v_add_f64_e32 v[42:43], v[235:236], v[42:43]
	v_add_f64_e32 v[108:109], v[249:250], v[108:109]
	;; [unrolled: 1-line block ×3, first 2 shown]
	v_fma_f64 v[36:37], v[52:53], s[16:17], v[118:119]
	v_fma_f64 v[118:119], v[52:53], s[10:11], v[191:192]
	v_add_f64_e32 v[20:21], v[205:206], v[20:21]
	v_add_f64_e32 v[62:63], v[62:63], v[155:156]
	v_mul_f64_e32 v[122:123], s[12:13], v[92:93]
	v_mul_f64_e32 v[189:190], s[16:17], v[92:93]
	;; [unrolled: 1-line block ×3, first 2 shown]
	v_add_f64_e32 v[96:97], v[144:145], v[96:97]
	v_mul_f64_e32 v[144:145], s[10:11], v[92:93]
	v_mul_f64_e32 v[92:93], s[44:45], v[92:93]
	v_add_f64_e32 v[46:47], v[126:127], v[46:47]
	v_add_f64_e32 v[30:31], v[233:234], v[30:31]
	;; [unrolled: 1-line block ×4, first 2 shown]
	v_fma_f64 v[112:113], v[52:53], s[2:3], v[229:230]
	v_fma_f64 v[52:53], v[52:53], s[44:45], v[54:55]
	v_mul_f64_e32 v[54:55], s[38:39], v[66:67]
	v_add_f64_e32 v[8:9], v[161:162], v[8:9]
	v_add_f64_e32 v[18:19], v[18:19], v[179:180]
	v_mul_f64_e32 v[155:156], s[14:15], v[88:89]
	v_add_f64_e32 v[32:33], v[253:254], v[32:33]
	v_add_f64_e32 v[40:41], v[48:49], v[40:41]
	v_mul_f64_e32 v[169:170], s[18:19], v[88:89]
	v_mul_f64_e32 v[179:180], s[44:45], v[88:89]
	v_fma_f64 v[48:49], v[56:57], s[0:1], -v[58:59]
	v_add_f64_e32 v[38:39], v[140:141], v[38:39]
	v_add_f64_e32 v[159:160], v[199:200], v[159:160]
	v_fma_f64 v[233:234], v[90:91], s[20:21], v[207:208]
	v_fma_f64 v[205:206], v[90:91], s[36:37], v[100:101]
	;; [unrolled: 1-line block ×6, first 2 shown]
	v_add_f64_e32 v[110:111], v[195:196], v[110:111]
	v_mul_f64_e32 v[211:212], s[34:35], v[66:67]
	v_add_f64_e32 v[42:43], v[239:240], v[42:43]
	v_add_f64_e32 v[16:17], v[16:17], v[108:109]
	v_mul_f64_e32 v[239:240], s[10:11], v[88:89]
	v_mul_f64_e32 v[88:89], s[0:1], v[88:89]
	v_add_f64_e32 v[22:23], v[142:143], v[22:23]
	v_add_f64_e32 v[20:21], v[183:184], v[20:21]
	v_fma_f64 v[183:184], v[90:91], s[34:35], v[243:244]
	v_fma_f64 v[90:91], v[90:91], s[48:49], v[94:95]
	v_add_f64_e32 v[60:61], v[60:61], v[62:63]
	v_fma_f64 v[108:109], v[86:87], s[20:21], v[189:190]
	v_fma_f64 v[140:141], v[86:87], s[40:41], v[227:228]
	v_fma_f64 v[173:174], v[86:87], s[28:29], v[144:145]
	v_fma_f64 v[50:51], v[86:87], s[26:27], v[227:228]
	v_add_f64_e32 v[46:47], v[223:224], v[46:47]
	v_fma_f64 v[62:63], v[86:87], s[46:47], v[189:190]
	v_add_f64_e32 v[94:95], v[203:204], v[167:168]
	v_fma_f64 v[209:210], v[56:57], s[2:3], -v[209:210]
	v_mul_f64_e32 v[235:236], s[2:3], v[84:85]
	v_mul_f64_e32 v[136:137], s[18:19], v[84:85]
	;; [unrolled: 1-line block ×3, first 2 shown]
	v_add_f64_e32 v[28:29], v[114:115], v[28:29]
	v_add_f64_e32 v[18:19], v[124:125], v[18:19]
	v_fma_f64 v[114:115], v[56:57], s[14:15], -v[215:216]
	v_add_f64_e32 v[32:33], v[151:152], v[32:33]
	v_fma_f64 v[151:152], v[56:57], s[10:11], -v[138:139]
	v_mul_f64_e32 v[165:166], s[6:7], v[66:67]
	v_mul_f64_e32 v[167:168], s[14:15], v[84:85]
	v_add_f64_e32 v[8:9], v[48:49], v[8:9]
	v_fma_f64 v[48:49], v[64:65], s[10:11], -v[54:55]
	v_mul_f64_e32 v[189:190], s[16:17], v[84:85]
	v_add_f64_e32 v[30:31], v[233:234], v[30:31]
	v_fma_f64 v[233:234], v[86:87], s[34:35], v[122:123]
	v_add_f64_e32 v[157:158], v[207:208], v[157:158]
	v_add_f64_e32 v[10:11], v[187:188], v[10:11]
	v_fma_f64 v[122:123], v[86:87], s[22:23], v[122:123]
	v_add_f64_e32 v[12:13], v[14:15], v[12:13]
	v_fma_f64 v[14:15], v[86:87], s[38:39], v[144:145]
	v_add_f64_e32 v[100:101], v[100:101], v[163:164]
	v_add_f64_e32 v[42:43], v[205:206], v[42:43]
	;; [unrolled: 1-line block ×3, first 2 shown]
	v_mul_f64_e32 v[163:164], s[0:1], v[84:85]
	v_add_f64_e32 v[110:111], v[153:154], v[110:111]
	v_fma_f64 v[153:154], v[56:57], s[18:19], -v[171:172]
	v_mul_f64_e32 v[187:188], s[30:31], v[66:67]
	v_add_f64_e32 v[34:35], v[183:184], v[34:35]
	v_fma_f64 v[183:184], v[86:87], s[52:53], v[92:93]
	v_fma_f64 v[86:87], v[86:87], s[50:51], v[92:93]
	v_add_f64_e32 v[60:61], v[90:91], v[60:61]
	v_mul_f64_e32 v[84:85], s[10:11], v[84:85]
	v_add_f64_e32 v[38:39], v[140:141], v[38:39]
	v_fma_f64 v[140:141], v[82:83], s[24:25], v[169:170]
	v_mul_f64_e32 v[191:192], s[46:47], v[66:67]
	v_fma_f64 v[197:198], v[82:83], s[26:27], v[197:198]
	v_fma_f64 v[98:99], v[82:83], s[34:35], v[98:99]
	v_add_f64_e32 v[90:91], v[185:186], v[159:160]
	v_add_f64_e32 v[24:25], v[36:37], v[24:25]
	;; [unrolled: 1-line block ×3, first 2 shown]
	v_fma_f64 v[50:51], v[56:57], s[14:15], v[215:216]
	v_add_f64_e32 v[44:45], v[112:113], v[94:95]
	v_fma_f64 v[92:93], v[82:83], s[28:29], v[239:240]
	v_fma_f64 v[94:95], v[56:57], s[10:11], v[138:139]
	;; [unrolled: 1-line block ×4, first 2 shown]
	v_fma_f64 v[211:212], v[64:65], s[12:13], -v[211:212]
	v_add_f64_e32 v[22:23], v[209:210], v[22:23]
	v_add_f64_e32 v[40:41], v[52:53], v[40:41]
	;; [unrolled: 1-line block ×4, first 2 shown]
	scratch_load_b64 v[134:135], off, off   ; 8-byte Folded Reload
	v_add_f64_e32 v[30:31], v[233:234], v[30:31]
	v_fma_f64 v[233:234], v[82:83], s[48:49], v[155:156]
	v_mul_f64_e32 v[132:133], s[14:15], v[78:79]
	v_add_f64_e32 v[66:67], v[122:123], v[157:158]
	v_fma_f64 v[122:123], v[56:57], s[44:45], v[181:182]
	v_add_f64_e32 v[12:13], v[14:15], v[12:13]
	v_add_f64_e32 v[14:15], v[118:119], v[18:19]
	;; [unrolled: 1-line block ×3, first 2 shown]
	v_fma_f64 v[108:109], v[82:83], s[38:39], v[239:240]
	v_add_f64_e32 v[16:17], v[175:176], v[16:17]
	v_fma_f64 v[175:176], v[56:57], s[44:45], -v[181:182]
	v_fma_f64 v[18:19], v[82:83], s[30:31], v[155:156]
	v_add_f64_e32 v[62:63], v[62:63], v[100:101]
	v_add_f64_e32 v[34:35], v[173:174], v[34:35]
	;; [unrolled: 1-line block ×3, first 2 shown]
	v_fma_f64 v[183:184], v[82:83], s[42:43], v[88:89]
	v_fma_f64 v[173:174], v[82:83], s[50:51], v[179:180]
	;; [unrolled: 1-line block ×5, first 2 shown]
	v_add_f64_e32 v[60:61], v[86:87], v[60:61]
	v_fma_f64 v[56:57], v[56:57], s[0:1], v[58:59]
	v_mul_f64_e32 v[241:242], s[44:45], v[78:79]
	v_mul_f64_e32 v[249:250], s[52:53], v[80:81]
	v_mul_f64_e32 v[177:178], s[16:17], v[78:79]
	v_mul_f64_e32 v[128:129], s[46:47], v[80:81]
	v_add_f64_e32 v[28:29], v[114:115], v[28:29]
	v_fma_f64 v[144:145], v[64:65], s[18:19], -v[130:131]
	v_mul_f64_e32 v[138:139], s[0:1], v[78:79]
	v_mul_f64_e32 v[155:156], s[42:43], v[80:81]
	v_add_f64_e32 v[32:33], v[151:152], v[32:33]
	v_fma_f64 v[151:152], v[64:65], s[0:1], -v[165:166]
	v_mul_f64_e32 v[157:158], s[2:3], v[78:79]
	v_mul_f64_e32 v[159:160], s[40:41], v[80:81]
	;; [unrolled: 4-line block ×3, first 2 shown]
	v_mul_f64_e32 v[86:87], s[18:19], v[78:79]
	v_mul_f64_e32 v[88:89], s[36:37], v[80:81]
	v_fma_f64 v[171:172], v[76:77], s[38:39], v[84:85]
	v_mul_f64_e32 v[78:79], s[12:13], v[78:79]
	v_mul_f64_e32 v[80:81], s[34:35], v[80:81]
	v_add_f64_e32 v[30:31], v[233:234], v[30:31]
	v_fma_f64 v[124:125], v[76:77], s[24:25], v[136:137]
	v_add_f64_e32 v[38:39], v[140:141], v[38:39]
	v_add_f64_e32 v[42:43], v[108:109], v[42:43]
	v_fma_f64 v[108:109], v[76:77], s[6:7], v[163:164]
	v_fma_f64 v[140:141], v[76:77], s[30:31], v[167:168]
	v_add_f64_e32 v[16:17], v[175:176], v[16:17]
	v_fma_f64 v[52:53], v[76:77], s[46:47], v[189:190]
	v_fma_f64 v[58:59], v[64:65], s[16:17], -v[191:192]
	v_fma_f64 v[201:202], v[76:77], s[34:35], v[201:202]
	v_add_f64_e32 v[10:11], v[183:184], v[10:11]
	v_add_f64_e32 v[34:35], v[173:174], v[34:35]
	;; [unrolled: 1-line block ×4, first 2 shown]
	v_fma_f64 v[217:218], v[76:77], s[26:27], v[235:236]
	v_fma_f64 v[235:236], v[76:77], s[40:41], v[235:236]
	v_fma_f64 v[237:238], v[64:65], s[2:3], -v[237:238]
	v_add_f64_e32 v[98:99], v[98:99], v[102:103]
	v_fma_f64 v[221:222], v[76:77], s[52:53], v[221:222]
	v_add_f64_e32 v[18:19], v[18:19], v[66:67]
	v_add_f64_e32 v[50:51], v[50:51], v[90:91]
	v_fma_f64 v[66:67], v[76:77], s[36:37], v[136:137]
	v_fma_f64 v[90:91], v[64:65], s[18:19], v[130:131]
	v_add_f64_e32 v[62:63], v[92:93], v[62:63]
	v_add_f64_e32 v[24:25], v[94:95], v[24:25]
	;; [unrolled: 1-line block ×6, first 2 shown]
	v_fma_f64 v[92:93], v[76:77], s[42:43], v[163:164]
	v_fma_f64 v[94:95], v[64:65], s[0:1], v[165:166]
	;; [unrolled: 1-line block ×6, first 2 shown]
	v_add_f64_e32 v[163:164], v[211:212], v[22:23]
	v_fma_f64 v[22:23], v[76:77], s[28:29], v[84:85]
	v_add_f64_e32 v[60:61], v[82:83], v[60:61]
	v_fma_f64 v[54:55], v[64:65], s[10:11], v[54:55]
	v_add_f64_e32 v[40:41], v[56:57], v[40:41]
	v_add_f64_e32 v[28:29], v[144:145], v[28:29]
	;; [unrolled: 1-line block ×4, first 2 shown]
	v_fma_f64 v[151:152], v[72:73], s[34:35], v[78:79]
	v_fma_f64 v[153:154], v[74:75], s[12:13], -v[80:81]
	v_add_f64_e32 v[30:31], v[124:125], v[30:31]
	v_add_f64_e32 v[42:43], v[108:109], v[42:43]
	v_fma_f64 v[76:77], v[72:73], s[40:41], v[157:158]
	v_add_f64_e32 v[144:145], v[171:172], v[10:11]
	v_add_f64_e32 v[38:39], v[140:141], v[38:39]
	;; [unrolled: 1-line block ×4, first 2 shown]
	v_fma_f64 v[124:125], v[72:73], s[36:37], v[86:87]
	v_fma_f64 v[140:141], v[74:75], s[18:19], -v[88:89]
	v_fma_f64 v[108:109], v[72:73], s[38:39], v[161:162]
	v_fma_f64 v[110:111], v[74:75], s[10:11], -v[169:170]
	v_fma_f64 v[82:83], v[74:75], s[2:3], -v[159:160]
	v_fma_f64 v[56:57], v[72:73], s[42:43], v[138:139]
	v_fma_f64 v[64:65], v[74:75], s[0:1], -v[155:156]
	v_fma_f64 v[136:137], v[74:75], s[16:17], v[128:129]
	v_add_f64_e32 v[26:27], v[201:202], v[26:27]
	v_fma_f64 v[165:166], v[72:73], s[46:47], v[177:178]
	v_fma_f64 v[128:129], v[74:75], s[16:17], -v[128:129]
	v_fma_f64 v[126:127], v[72:73], s[50:51], v[241:242]
	v_fma_f64 v[102:103], v[74:75], s[44:45], v[249:250]
	;; [unrolled: 1-line block ×3, first 2 shown]
	v_fma_f64 v[249:250], v[74:75], s[44:45], -v[249:250]
	v_add_f64_e32 v[98:99], v[235:236], v[98:99]
	v_add_f64_e32 v[116:117], v[237:238], v[116:117]
	v_fma_f64 v[142:143], v[72:73], s[30:31], v[132:133]
	v_fma_f64 v[132:133], v[72:73], s[48:49], v[132:133]
	v_add_f64_e32 v[106:107], v[221:222], v[106:107]
	v_add_f64_e32 v[96:97], v[231:232], v[96:97]
	;; [unrolled: 1-line block ×4, first 2 shown]
	v_fma_f64 v[130:131], v[72:73], s[20:21], v[177:178]
	v_add_f64_e32 v[66:67], v[66:67], v[18:19]
	v_add_f64_e32 v[90:91], v[90:91], v[50:51]
	v_fma_f64 v[50:51], v[72:73], s[6:7], v[138:139]
	v_fma_f64 v[155:156], v[74:75], s[0:1], v[155:156]
	v_add_f64_e32 v[62:63], v[92:93], v[62:63]
	v_add_f64_e32 v[92:93], v[94:95], v[24:25]
	;; [unrolled: 1-line block ×6, first 2 shown]
	v_fma_f64 v[122:123], v[72:73], s[26:27], v[157:158]
	v_fma_f64 v[157:158], v[74:75], s[2:3], v[159:160]
	;; [unrolled: 1-line block ×6, first 2 shown]
	v_add_f64_e32 v[159:160], v[22:23], v[60:61]
	v_fma_f64 v[60:61], v[74:75], s[18:19], v[88:89]
	v_fma_f64 v[73:74], v[74:75], s[12:13], v[80:81]
	v_add_f64_e32 v[80:81], v[54:55], v[40:41]
	v_add_f64_e32 v[2:3], v[6:7], v[2:3]
	;; [unrolled: 1-line block ×26, first 2 shown]
	v_mul_u32_u24_e32 v69, 0x110, v68
	v_add_f64_e32 v[54:55], v[122:123], v[62:63]
	v_add_f64_e32 v[52:53], v[157:158], v[92:93]
	;; [unrolled: 1-line block ×4, first 2 shown]
	v_add3_u32 v69, 0, v69, v150
	v_add_f64_e32 v[56:57], v[78:79], v[100:101]
	v_add_f64_e32 v[66:67], v[71:72], v[159:160]
	v_add_f64_e32 v[60:61], v[60:61], v[118:119]
	v_add_f64_e32 v[64:65], v[73:74], v[80:81]
	ds_store_b128 v69, v[0:3]
	ds_store_b128 v69, v[44:47] offset:16
	ds_store_b128 v69, v[40:43] offset:32
	;; [unrolled: 1-line block ×16, first 2 shown]
.LBB0_12:
	s_or_b32 exec_lo, exec_lo, s33
	v_and_b32_e32 v0, 0xff, v68
	v_add_nc_u16 v6, v68, 0x44
	v_add_nc_u16 v1, v68, 0x88
	global_wb scope:SCOPE_SE
	s_wait_storecnt 0x0
	s_wait_loadcnt_dscnt 0x0
	s_barrier_signal -1
	v_mul_lo_u16 v2, 0xf1, v0
	v_and_b32_e32 v3, 0xff, v6
	v_add_nc_u32_e32 v0, 0xcc, v68
	v_and_b32_e32 v11, 0xff, v1
	s_barrier_wait -1
	v_lshrrev_b16 v10, 12, v2
	v_mul_lo_u16 v2, 0xf1, v3
	v_and_b32_e32 v4, 0xffff, v0
	global_inv scope:SCOPE_SE
	v_mul_lo_u16 v7, v10, 17
	v_lshrrev_b16 v3, 12, v2
	v_mul_lo_u16 v2, 0xf1, v11
	v_mul_u32_u24_e32 v5, 0xf0f1, v4
	v_mul_lo_u16 v11, 0x79, v11
	v_sub_nc_u16 v8, v68, v7
	v_mul_lo_u16 v9, v3, 17
	v_lshrrev_b16 v7, 12, v2
	v_lshrrev_b32_e32 v4, 20, v5
	v_lshrrev_b16 v11, 13, v11
	v_and_b32_e32 v2, 0xff, v8
	v_sub_nc_u16 v6, v6, v9
	v_mul_lo_u16 v8, v7, 17
	v_mul_lo_u16 v9, v4, 17
	v_lshrrev_b32_e32 v5, 22, v5
	v_mul_u32_u24_e32 v12, 3, v2
	v_and_b32_e32 v6, 0xff, v6
	v_sub_nc_u16 v8, v1, v8
	v_sub_nc_u16 v9, v0, v9
	v_and_b32_e32 v10, 0xffff, v10
	v_lshlrev_b32_e32 v20, 4, v12
	v_mul_u32_u24_e32 v21, 3, v6
	v_and_b32_e32 v8, 0xff, v8
	v_and_b32_e32 v9, 0xffff, v9
	v_mul_lo_u16 v11, 0x44, v11
	s_clause 0x1
	global_load_b128 v[12:15], v20, s[4:5] offset:16
	global_load_b128 v[16:19], v20, s[4:5]
	v_lshlrev_b32_e32 v32, 4, v21
	v_mul_u32_u24_e32 v28, 3, v8
	global_load_b128 v[20:23], v20, s[4:5] offset:32
	v_mul_u32_u24_e32 v40, 3, v9
	v_and_b32_e32 v3, 0xffff, v3
	global_load_b128 v[24:27], v32, s[4:5]
	v_lshlrev_b32_e32 v44, 4, v28
	s_clause 0x2
	global_load_b128 v[28:31], v32, s[4:5] offset:16
	global_load_b128 v[32:35], v32, s[4:5] offset:32
	global_load_b128 v[36:39], v44, s[4:5]
	v_lshlrev_b32_e32 v56, 4, v40
	s_clause 0x4
	global_load_b128 v[40:43], v44, s[4:5] offset:16
	global_load_b128 v[44:47], v44, s[4:5] offset:32
	global_load_b128 v[48:51], v56, s[4:5]
	global_load_b128 v[52:55], v56, s[4:5] offset:16
	global_load_b128 v[56:59], v56, s[4:5] offset:32
	ds_load_b128 v[60:63], v149 offset:4352
	ds_load_b128 v[64:67], v149 offset:8704
	;; [unrolled: 1-line block ×12, first 2 shown]
	v_mul_lo_u16 v5, 0x44, v5
	v_mad_u32_u24 v10, 0x440, v10, 0
	v_and_b32_e32 v7, 0xffff, v7
	v_sub_nc_u16 v1, v1, v11
	v_lshlrev_b32_e32 v2, 4, v2
	v_mad_u32_u24 v3, 0x440, v3, 0
	v_sub_nc_u16 v11, v0, v5
	v_lshlrev_b32_e32 v5, 4, v6
	v_mad_u32_u24 v4, 0x440, v4, 0
	v_mad_u32_u24 v7, 0x440, v7, 0
	v_lshlrev_b32_e32 v6, 4, v8
	v_lshlrev_b32_e32 v8, 4, v9
	v_and_b32_e32 v0, 0xff, v1
	v_add3_u32 v1, v10, v2, v150
	v_add3_u32 v2, v3, v5, v150
	;; [unrolled: 1-line block ×4, first 2 shown]
	s_wait_loadcnt_dscnt 0xb0a
	v_mul_f64_e32 v[112:113], v[66:67], v[14:15]
	s_wait_loadcnt 0xa
	v_mul_f64_e32 v[69:70], v[62:63], v[18:19]
	v_mul_f64_e32 v[18:19], v[60:61], v[18:19]
	;; [unrolled: 1-line block ×3, first 2 shown]
	s_wait_loadcnt_dscnt 0x909
	v_mul_f64_e32 v[114:115], v[74:75], v[22:23]
	v_mul_f64_e32 v[22:23], v[72:73], v[22:23]
	s_wait_loadcnt_dscnt 0x808
	v_mul_f64_e32 v[116:117], v[78:79], v[26:27]
	v_mul_f64_e32 v[26:27], v[76:77], v[26:27]
	;; [unrolled: 3-line block ×10, first 2 shown]
	v_fma_f64 v[64:65], v[64:65], v[12:13], -v[112:113]
	v_fma_f64 v[60:61], v[60:61], v[16:17], -v[69:70]
	v_fma_f64 v[62:63], v[62:63], v[16:17], v[18:19]
	v_fma_f64 v[66:67], v[66:67], v[12:13], v[14:15]
	v_fma_f64 v[69:70], v[72:73], v[20:21], -v[114:115]
	v_fma_f64 v[71:72], v[74:75], v[20:21], v[22:23]
	v_fma_f64 v[73:74], v[76:77], v[24:25], -v[116:117]
	;; [unrolled: 2-line block ×10, first 2 shown]
	v_fma_f64 v[56:57], v[110:111], v[56:57], v[58:59]
	ds_load_b128 v[12:15], v146
	ds_load_b128 v[16:19], v149 offset:1088
	ds_load_b128 v[20:23], v149 offset:2176
	;; [unrolled: 1-line block ×3, first 2 shown]
	global_wb scope:SCOPE_SE
	s_wait_dscnt 0x0
	s_barrier_signal -1
	s_barrier_wait -1
	global_inv scope:SCOPE_SE
	v_add_f64_e64 v[58:59], v[12:13], -v[64:65]
	v_add_f64_e64 v[64:65], v[14:15], -v[66:67]
	v_add_f64_e64 v[66:67], v[60:61], -v[69:70]
	v_add_f64_e64 v[69:70], v[62:63], -v[71:72]
	v_add_f64_e64 v[71:72], v[16:17], -v[77:78]
	v_add_f64_e64 v[77:78], v[18:19], -v[28:29]
	v_add_f64_e64 v[28:29], v[73:74], -v[30:31]
	v_add_f64_e64 v[30:31], v[75:76], -v[32:33]
	v_add_f64_e64 v[79:80], v[20:21], -v[38:39]
	v_add_f64_e64 v[81:82], v[22:23], -v[40:41]
	v_add_f64_e64 v[38:39], v[34:35], -v[42:43]
	v_add_f64_e64 v[32:33], v[36:37], -v[44:45]
	v_add_f64_e64 v[83:84], v[24:25], -v[50:51]
	v_add_f64_e64 v[85:86], v[26:27], -v[52:53]
	v_add_f64_e64 v[44:45], v[46:47], -v[54:55]
	v_add_f64_e64 v[40:41], v[48:49], -v[56:57]
	v_fma_f64 v[50:51], v[12:13], 2.0, -v[58:59]
	v_fma_f64 v[54:55], v[14:15], 2.0, -v[64:65]
	;; [unrolled: 1-line block ×4, first 2 shown]
	v_add_f64_e64 v[12:13], v[58:59], -v[69:70]
	v_fma_f64 v[60:61], v[16:17], 2.0, -v[71:72]
	v_fma_f64 v[62:63], v[18:19], 2.0, -v[77:78]
	;; [unrolled: 1-line block ×4, first 2 shown]
	v_add_f64_e32 v[14:15], v[64:65], v[66:67]
	v_add_f64_e64 v[16:17], v[71:72], -v[30:31]
	v_fma_f64 v[75:76], v[20:21], 2.0, -v[79:80]
	v_fma_f64 v[87:88], v[22:23], 2.0, -v[81:82]
	;; [unrolled: 1-line block ×4, first 2 shown]
	v_add_f64_e32 v[18:19], v[77:78], v[28:29]
	v_fma_f64 v[89:90], v[24:25], 2.0, -v[83:84]
	v_fma_f64 v[91:92], v[26:27], 2.0, -v[85:86]
	;; [unrolled: 1-line block ×4, first 2 shown]
	v_add_f64_e64 v[24:25], v[79:80], -v[32:33]
	v_add_f64_e32 v[26:27], v[81:82], v[38:39]
	v_add_f64_e32 v[38:39], v[85:86], v[44:45]
	v_mul_u32_u24_e32 v44, 3, v68
	s_delay_alu instid0(VALU_DEP_1)
	v_lshlrev_b32_e32 v69, 4, v44
	v_add_f64_e64 v[20:21], v[50:51], -v[42:43]
	v_add_f64_e64 v[22:23], v[54:55], -v[52:53]
	v_fma_f64 v[44:45], v[58:59], 2.0, -v[12:13]
	v_add_f64_e64 v[28:29], v[60:61], -v[56:57]
	v_add_f64_e64 v[30:31], v[62:63], -v[73:74]
	;; [unrolled: 1-line block ×7, first 2 shown]
	v_fma_f64 v[46:47], v[64:65], 2.0, -v[14:15]
	v_fma_f64 v[48:49], v[71:72], 2.0, -v[16:17]
	;; [unrolled: 1-line block ×15, first 2 shown]
	ds_store_b128 v1, v[20:23] offset:544
	ds_store_b128 v1, v[12:15] offset:816
	ds_store_b128 v1, v[52:55]
	ds_store_b128 v1, v[44:47] offset:272
	ds_store_b128 v2, v[28:31] offset:544
	;; [unrolled: 1-line block ×3, first 2 shown]
	ds_store_b128 v2, v[60:63]
	ds_store_b128 v2, v[48:51] offset:272
	ds_store_b128 v3, v[64:67]
	ds_store_b128 v3, v[56:59] offset:272
	ds_store_b128 v3, v[32:35] offset:544
	;; [unrolled: 1-line block ×3, first 2 shown]
	ds_store_b128 v4, v[76:79]
	ds_store_b128 v4, v[72:75] offset:272
	ds_store_b128 v4, v[40:43] offset:544
	;; [unrolled: 1-line block ×3, first 2 shown]
	v_and_b32_e32 v1, 0xffff, v11
	v_mul_u32_u24_e32 v14, 3, v0
	global_wb scope:SCOPE_SE
	s_wait_dscnt 0x0
	s_barrier_signal -1
	s_barrier_wait -1
	v_mul_u32_u24_e32 v18, 3, v1
	v_lshlrev_b32_e32 v22, 4, v14
	global_inv scope:SCOPE_SE
	s_clause 0x2
	global_load_b128 v[2:5], v69, s[4:5] offset:816
	global_load_b128 v[6:9], v69, s[4:5] offset:832
	;; [unrolled: 1-line block ×3, first 2 shown]
	v_lshlrev_b32_e32 v34, 4, v18
	s_clause 0x5
	global_load_b128 v[14:17], v22, s[4:5] offset:816
	global_load_b128 v[18:21], v22, s[4:5] offset:832
	;; [unrolled: 1-line block ×6, first 2 shown]
	ds_load_b128 v[38:41], v149 offset:4352
	ds_load_b128 v[42:45], v149 offset:8704
	;; [unrolled: 1-line block ×12, first 2 shown]
	v_lshlrev_b32_e32 v0, 4, v0
	v_lshlrev_b32_e32 v1, 4, v1
	s_delay_alu instid0(VALU_DEP_2) | instskip(NEXT) | instid1(VALU_DEP_2)
	v_add3_u32 v0, 0, v0, v150
	v_add3_u32 v1, 0, v1, v150
	s_wait_loadcnt_dscnt 0x80b
	v_mul_f64_e32 v[66:67], v[40:41], v[4:5]
	v_mul_f64_e32 v[69:70], v[38:39], v[4:5]
	s_wait_loadcnt_dscnt 0x70a
	v_mul_f64_e32 v[92:93], v[44:45], v[8:9]
	v_mul_f64_e32 v[94:95], v[42:43], v[8:9]
	s_wait_loadcnt_dscnt 0x609
	v_mul_f64_e32 v[96:97], v[48:49], v[12:13]
	v_mul_f64_e32 v[98:99], v[46:47], v[12:13]
	s_wait_dscnt 0x8
	v_mul_f64_e32 v[100:101], v[52:53], v[4:5]
	v_mul_f64_e32 v[4:5], v[50:51], v[4:5]
	s_wait_dscnt 0x7
	v_mul_f64_e32 v[102:103], v[56:57], v[8:9]
	v_mul_f64_e32 v[8:9], v[54:55], v[8:9]
	;; [unrolled: 3-line block ×3, first 2 shown]
	s_wait_loadcnt_dscnt 0x505
	v_mul_f64_e32 v[106:107], v[64:65], v[16:17]
	v_mul_f64_e32 v[16:17], v[62:63], v[16:17]
	s_wait_loadcnt_dscnt 0x404
	v_mul_f64_e32 v[108:109], v[74:75], v[20:21]
	v_mul_f64_e32 v[20:21], v[72:73], v[20:21]
	;; [unrolled: 3-line block ×6, first 2 shown]
	v_fma_f64 v[38:39], v[38:39], v[2:3], -v[66:67]
	v_fma_f64 v[40:41], v[40:41], v[2:3], v[69:70]
	v_fma_f64 v[42:43], v[42:43], v[6:7], -v[92:93]
	v_fma_f64 v[44:45], v[44:45], v[6:7], v[94:95]
	;; [unrolled: 2-line block ×12, first 2 shown]
	ds_load_b128 v[2:5], v146
	ds_load_b128 v[6:9], v149 offset:1088
	ds_load_b128 v[10:13], v149 offset:2176
	;; [unrolled: 1-line block ×3, first 2 shown]
	global_wb scope:SCOPE_SE
	s_wait_dscnt 0x0
	s_barrier_signal -1
	s_barrier_wait -1
	global_inv scope:SCOPE_SE
	v_add_f64_e64 v[42:43], v[2:3], -v[42:43]
	v_add_f64_e64 v[44:45], v[4:5], -v[44:45]
	;; [unrolled: 1-line block ×16, first 2 shown]
	v_fma_f64 v[2:3], v[2:3], 2.0, -v[42:43]
	v_fma_f64 v[4:5], v[4:5], 2.0, -v[44:45]
	;; [unrolled: 1-line block ×8, first 2 shown]
	v_add_f64_e64 v[8:9], v[42:43], -v[46:47]
	v_fma_f64 v[73:74], v[10:11], 2.0, -v[60:61]
	v_fma_f64 v[78:79], v[12:13], 2.0, -v[66:67]
	;; [unrolled: 1-line block ×4, first 2 shown]
	v_add_f64_e32 v[10:11], v[44:45], v[36:37]
	v_add_f64_e64 v[12:13], v[48:49], -v[58:59]
	v_fma_f64 v[80:81], v[14:15], 2.0, -v[69:70]
	v_fma_f64 v[82:83], v[16:17], 2.0, -v[76:77]
	v_fma_f64 v[52:53], v[24:25], 2.0, -v[22:23]
	v_fma_f64 v[62:63], v[26:27], 2.0, -v[28:29]
	v_add_f64_e64 v[16:17], v[60:61], -v[20:21]
	v_add_f64_e64 v[20:21], v[69:70], -v[28:29]
	v_add_f64_e32 v[14:15], v[54:55], v[56:57]
	v_add_f64_e32 v[18:19], v[66:67], v[18:19]
	;; [unrolled: 1-line block ×3, first 2 shown]
	v_add_f64_e64 v[24:25], v[2:3], -v[30:31]
	v_add_f64_e64 v[26:27], v[4:5], -v[32:33]
	;; [unrolled: 1-line block ×6, first 2 shown]
	v_fma_f64 v[40:41], v[42:43], 2.0, -v[8:9]
	v_fma_f64 v[42:43], v[44:45], 2.0, -v[10:11]
	;; [unrolled: 1-line block ×3, first 2 shown]
	v_add_f64_e64 v[36:37], v[80:81], -v[52:53]
	v_add_f64_e64 v[38:39], v[82:83], -v[62:63]
	v_fma_f64 v[48:49], v[60:61], 2.0, -v[16:17]
	v_fma_f64 v[52:53], v[69:70], 2.0, -v[20:21]
	;; [unrolled: 1-line block ×5, first 2 shown]
	v_mov_b32_e32 v69, 0
	v_fma_f64 v[56:57], v[2:3], 2.0, -v[24:25]
	v_fma_f64 v[58:59], v[4:5], 2.0, -v[26:27]
	s_delay_alu instid0(VALU_DEP_3) | instskip(SKIP_2) | instid1(VALU_DEP_3)
	v_lshlrev_b64_e32 v[4:5], 4, v[68:69]
	v_fma_f64 v[60:61], v[6:7], 2.0, -v[28:29]
	v_fma_f64 v[62:63], v[71:72], 2.0, -v[30:31]
	v_add_co_u32 v6, s0, s4, v4
	s_wait_alu 0xf1ff
	s_delay_alu instid0(VALU_DEP_4)
	v_add_co_ci_u32_e64 v7, s0, s5, v5, s0
	v_fma_f64 v[64:65], v[73:74], 2.0, -v[32:33]
	v_fma_f64 v[66:67], v[78:79], 2.0, -v[34:35]
	v_cmp_ne_u32_e64 s0, 0, v68
	v_fma_f64 v[72:73], v[80:81], 2.0, -v[36:37]
	v_fma_f64 v[74:75], v[82:83], 2.0, -v[38:39]
	ds_store_b128 v149, v[24:27] offset:2176
	ds_store_b128 v149, v[8:11] offset:3264
	;; [unrolled: 1-line block ×8, first 2 shown]
	ds_store_b128 v149, v[56:59]
	ds_store_b128 v149, v[40:43] offset:1088
	ds_store_b128 v149, v[60:63] offset:4352
	;; [unrolled: 1-line block ×7, first 2 shown]
	global_wb scope:SCOPE_SE
	s_wait_dscnt 0x0
	s_barrier_signal -1
	s_barrier_wait -1
	global_inv scope:SCOPE_SE
	s_clause 0x3
	global_load_b128 v[0:3], v[6:7], off offset:4080
	global_load_b128 v[8:11], v[6:7], off offset:5168
	;; [unrolled: 1-line block ×4, first 2 shown]
	ds_load_b128 v[20:23], v149 offset:8704
	ds_load_b128 v[24:27], v149 offset:9792
	;; [unrolled: 1-line block ×8, first 2 shown]
	s_wait_loadcnt_dscnt 0x307
	v_mul_f64_e32 v[52:53], v[22:23], v[2:3]
	v_mul_f64_e32 v[54:55], v[20:21], v[2:3]
	s_wait_loadcnt_dscnt 0x206
	v_mul_f64_e32 v[56:57], v[26:27], v[10:11]
	v_mul_f64_e32 v[58:59], v[24:25], v[10:11]
	;; [unrolled: 3-line block ×4, first 2 shown]
	s_wait_dscnt 0x3
	v_mul_f64_e32 v[69:70], v[38:39], v[2:3]
	v_mul_f64_e32 v[2:3], v[36:37], v[2:3]
	s_wait_dscnt 0x2
	v_mul_f64_e32 v[71:72], v[42:43], v[10:11]
	v_mul_f64_e32 v[10:11], v[40:41], v[10:11]
	;; [unrolled: 3-line block ×4, first 2 shown]
	v_fma_f64 v[52:53], v[20:21], v[0:1], -v[52:53]
	v_fma_f64 v[54:55], v[22:23], v[0:1], v[54:55]
	v_fma_f64 v[56:57], v[24:25], v[8:9], -v[56:57]
	v_fma_f64 v[58:59], v[26:27], v[8:9], v[58:59]
	;; [unrolled: 2-line block ×8, first 2 shown]
	ds_load_b128 v[0:3], v146
	ds_load_b128 v[8:11], v149 offset:1088
	ds_load_b128 v[12:15], v149 offset:2176
	;; [unrolled: 1-line block ×7, first 2 shown]
	global_wb scope:SCOPE_SE
	s_wait_dscnt 0x0
	s_barrier_signal -1
	s_barrier_wait -1
	global_inv scope:SCOPE_SE
	v_add_f64_e64 v[36:37], v[0:1], -v[52:53]
	v_add_f64_e64 v[38:39], v[2:3], -v[54:55]
	v_add_f64_e64 v[40:41], v[8:9], -v[56:57]
	v_add_f64_e64 v[42:43], v[10:11], -v[58:59]
	v_add_f64_e64 v[44:45], v[12:13], -v[60:61]
	v_add_f64_e64 v[46:47], v[14:15], -v[62:63]
	v_add_f64_e64 v[48:49], v[16:17], -v[64:65]
	v_add_f64_e64 v[50:51], v[18:19], -v[66:67]
	v_add_f64_e64 v[52:53], v[20:21], -v[69:70]
	v_add_f64_e64 v[54:55], v[22:23], -v[77:78]
	v_add_f64_e64 v[56:57], v[24:25], -v[71:72]
	v_add_f64_e64 v[58:59], v[26:27], -v[79:80]
	v_add_f64_e64 v[60:61], v[28:29], -v[73:74]
	v_add_f64_e64 v[62:63], v[30:31], -v[81:82]
	v_add_f64_e64 v[64:65], v[32:33], -v[75:76]
	v_add_f64_e64 v[66:67], v[34:35], -v[83:84]
	v_fma_f64 v[0:1], v[0:1], 2.0, -v[36:37]
	v_fma_f64 v[2:3], v[2:3], 2.0, -v[38:39]
	;; [unrolled: 1-line block ×16, first 2 shown]
	ds_store_b128 v149, v[36:39] offset:4352
	ds_store_b128 v149, v[40:43] offset:5440
	;; [unrolled: 1-line block ×8, first 2 shown]
	ds_store_b128 v149, v[0:3]
	ds_store_b128 v149, v[8:11] offset:1088
	ds_store_b128 v149, v[12:15] offset:2176
	;; [unrolled: 1-line block ×7, first 2 shown]
	global_wb scope:SCOPE_SE
	s_wait_dscnt 0x0
	s_barrier_signal -1
	s_barrier_wait -1
	global_inv scope:SCOPE_SE
	s_clause 0x7
	global_load_b128 v[0:3], v[6:7], off offset:8432
	global_load_b128 v[8:11], v[6:7], off offset:9520
	;; [unrolled: 1-line block ×8, first 2 shown]
	ds_load_b128 v[36:39], v149 offset:8704
	ds_load_b128 v[40:43], v149 offset:9792
	ds_load_b128 v[44:47], v149 offset:10880
	ds_load_b128 v[48:51], v149 offset:11968
	ds_load_b128 v[52:55], v149 offset:13056
	ds_load_b128 v[56:59], v149 offset:14144
	ds_load_b128 v[60:63], v149 offset:15232
	ds_load_b128 v[64:67], v149 offset:16320
	s_wait_loadcnt_dscnt 0x707
	v_mul_f64_e32 v[69:70], v[38:39], v[2:3]
	v_mul_f64_e32 v[2:3], v[36:37], v[2:3]
	s_wait_loadcnt_dscnt 0x606
	v_mul_f64_e32 v[71:72], v[42:43], v[10:11]
	v_mul_f64_e32 v[10:11], v[40:41], v[10:11]
	;; [unrolled: 3-line block ×8, first 2 shown]
	v_fma_f64 v[36:37], v[36:37], v[0:1], -v[69:70]
	v_fma_f64 v[38:39], v[38:39], v[0:1], v[2:3]
	v_fma_f64 v[40:41], v[40:41], v[8:9], -v[71:72]
	v_fma_f64 v[42:43], v[42:43], v[8:9], v[10:11]
	;; [unrolled: 2-line block ×8, first 2 shown]
	ds_load_b128 v[0:3], v146
	ds_load_b128 v[8:11], v149 offset:1088
	ds_load_b128 v[12:15], v149 offset:2176
	;; [unrolled: 1-line block ×7, first 2 shown]
	global_wb scope:SCOPE_SE
	s_wait_dscnt 0x0
	s_barrier_signal -1
	s_barrier_wait -1
	global_inv scope:SCOPE_SE
	v_add_f64_e64 v[36:37], v[0:1], -v[36:37]
	v_add_f64_e64 v[38:39], v[2:3], -v[38:39]
	;; [unrolled: 1-line block ×16, first 2 shown]
	v_fma_f64 v[0:1], v[0:1], 2.0, -v[36:37]
	v_fma_f64 v[2:3], v[2:3], 2.0, -v[38:39]
	;; [unrolled: 1-line block ×16, first 2 shown]
	ds_store_b128 v149, v[36:39] offset:8704
	ds_store_b128 v149, v[40:43] offset:9792
	;; [unrolled: 1-line block ×8, first 2 shown]
	ds_store_b128 v149, v[0:3]
	ds_store_b128 v149, v[8:11] offset:1088
	ds_store_b128 v149, v[12:15] offset:2176
	;; [unrolled: 1-line block ×7, first 2 shown]
	global_wb scope:SCOPE_SE
	s_wait_dscnt 0x0
	s_barrier_signal -1
	s_barrier_wait -1
	global_inv scope:SCOPE_SE
	ds_load_b128 v[0:3], v146
	v_sub_nc_u32_e32 v12, v148, v147
                                        ; implicit-def: $vgpr10_vgpr11
                                        ; implicit-def: $vgpr8_vgpr9
	s_and_saveexec_b32 s1, s0
	s_wait_alu 0xfffe
	s_xor_b32 s0, exec_lo, s1
	s_cbranch_execz .LBB0_14
; %bb.13:
	global_load_b128 v[6:9], v[6:7], off offset:17136
	ds_load_b128 v[13:16], v12 offset:17408
                                        ; implicit-def: $vgpr148
	s_wait_dscnt 0x0
	v_add_f64_e64 v[10:11], v[0:1], -v[13:14]
	v_add_f64_e32 v[17:18], v[2:3], v[15:16]
	v_add_f64_e64 v[2:3], v[2:3], -v[15:16]
	v_add_f64_e32 v[0:1], v[0:1], v[13:14]
	s_delay_alu instid0(VALU_DEP_4) | instskip(NEXT) | instid1(VALU_DEP_4)
	v_mul_f64_e32 v[10:11], 0.5, v[10:11]
	v_mul_f64_e32 v[15:16], 0.5, v[17:18]
	s_delay_alu instid0(VALU_DEP_4) | instskip(SKIP_1) | instid1(VALU_DEP_3)
	v_mul_f64_e32 v[2:3], 0.5, v[2:3]
	s_wait_loadcnt 0x0
	v_mul_f64_e32 v[13:14], v[10:11], v[8:9]
	s_delay_alu instid0(VALU_DEP_2) | instskip(SKIP_1) | instid1(VALU_DEP_3)
	v_fma_f64 v[17:18], v[15:16], v[8:9], v[2:3]
	v_fma_f64 v[2:3], v[15:16], v[8:9], -v[2:3]
	v_fma_f64 v[8:9], v[0:1], 0.5, v[13:14]
	v_fma_f64 v[0:1], v[0:1], 0.5, -v[13:14]
	s_delay_alu instid0(VALU_DEP_4) | instskip(NEXT) | instid1(VALU_DEP_4)
	v_fma_f64 v[13:14], -v[6:7], v[10:11], v[17:18]
	v_fma_f64 v[2:3], -v[6:7], v[10:11], v[2:3]
	ds_store_b64 v146, v[13:14] offset:8
	ds_store_b64 v12, v[2:3] offset:17416
	v_fma_f64 v[8:9], v[15:16], v[6:7], v[8:9]
	v_fma_f64 v[10:11], -v[15:16], v[6:7], v[0:1]
                                        ; implicit-def: $vgpr0_vgpr1
.LBB0_14:
	s_wait_alu 0xfffe
	s_and_not1_saveexec_b32 s0, s0
	s_cbranch_execz .LBB0_16
; %bb.15:
	s_wait_dscnt 0x0
	v_add_f64_e32 v[8:9], v[0:1], v[2:3]
	v_add_f64_e64 v[10:11], v[0:1], -v[2:3]
	s_mov_b32 s2, 0
	s_wait_alu 0xfffe
	s_mov_b32 s3, s2
	s_wait_alu 0xfffe
	v_dual_mov_b32 v0, s2 :: v_dual_mov_b32 v1, s3
	ds_store_b64 v146, v[0:1] offset:8
	ds_store_b64 v12, v[0:1] offset:17416
	ds_load_b64 v[0:1], v148 offset:8712
	s_wait_dscnt 0x0
	v_xor_b32_e32 v1, 0x80000000, v1
	ds_store_b64 v148, v[0:1] offset:8712
.LBB0_16:
	s_wait_alu 0xfffe
	s_or_b32 exec_lo, exec_lo, s0
	s_add_nc_u64 s[0:1], s[4:5], 0x42f0
	v_add_nc_u32_e32 v25, 0x800, v146
	s_wait_alu 0xfffe
	v_add_co_u32 v21, s0, s0, v4
	s_wait_alu 0xf1ff
	v_add_co_ci_u32_e64 v22, s0, s1, v5, s0
	s_wait_dscnt 0x0
	s_clause 0x1
	global_load_b128 v[0:3], v[21:22], off offset:1088
	global_load_b128 v[13:16], v[21:22], off offset:2176
	ds_store_b64 v146, v[8:9]
	ds_store_b64 v12, v[10:11] offset:17408
	ds_load_b128 v[6:9], v146 offset:1088
	ds_load_b128 v[17:20], v12 offset:16320
	s_wait_dscnt 0x0
	v_add_f64_e64 v[10:11], v[6:7], -v[17:18]
	v_add_f64_e32 v[23:24], v[8:9], v[19:20]
	v_add_f64_e64 v[8:9], v[8:9], -v[19:20]
	v_add_f64_e32 v[6:7], v[6:7], v[17:18]
	s_delay_alu instid0(VALU_DEP_4) | instskip(NEXT) | instid1(VALU_DEP_4)
	v_mul_f64_e32 v[10:11], 0.5, v[10:11]
	v_mul_f64_e32 v[19:20], 0.5, v[23:24]
	s_delay_alu instid0(VALU_DEP_4) | instskip(SKIP_1) | instid1(VALU_DEP_3)
	v_mul_f64_e32 v[8:9], 0.5, v[8:9]
	s_wait_loadcnt 0x1
	v_mul_f64_e32 v[17:18], v[10:11], v[2:3]
	s_delay_alu instid0(VALU_DEP_2) | instskip(SKIP_1) | instid1(VALU_DEP_3)
	v_fma_f64 v[23:24], v[19:20], v[2:3], v[8:9]
	v_fma_f64 v[2:3], v[19:20], v[2:3], -v[8:9]
	v_fma_f64 v[8:9], v[6:7], 0.5, v[17:18]
	v_fma_f64 v[6:7], v[6:7], 0.5, -v[17:18]
	s_delay_alu instid0(VALU_DEP_4) | instskip(NEXT) | instid1(VALU_DEP_4)
	v_fma_f64 v[17:18], -v[0:1], v[10:11], v[23:24]
	v_fma_f64 v[2:3], -v[0:1], v[10:11], v[2:3]
	s_delay_alu instid0(VALU_DEP_4) | instskip(NEXT) | instid1(VALU_DEP_4)
	v_fma_f64 v[10:11], v[19:20], v[0:1], v[8:9]
	v_fma_f64 v[0:1], -v[19:20], v[0:1], v[6:7]
	global_load_b128 v[6:9], v[21:22], off offset:3264
	ds_store_2addr_b64 v146, v[10:11], v[17:18] offset0:136 offset1:137
	ds_store_b128 v12, v[0:3] offset:16320
	ds_load_b128 v[0:3], v146 offset:2176
	ds_load_b128 v[17:20], v12 offset:15232
	s_wait_dscnt 0x0
	v_add_f64_e64 v[10:11], v[0:1], -v[17:18]
	v_add_f64_e32 v[23:24], v[2:3], v[19:20]
	v_add_f64_e64 v[2:3], v[2:3], -v[19:20]
	v_add_f64_e32 v[0:1], v[0:1], v[17:18]
	s_delay_alu instid0(VALU_DEP_4) | instskip(NEXT) | instid1(VALU_DEP_4)
	v_mul_f64_e32 v[10:11], 0.5, v[10:11]
	v_mul_f64_e32 v[19:20], 0.5, v[23:24]
	s_delay_alu instid0(VALU_DEP_4) | instskip(SKIP_1) | instid1(VALU_DEP_3)
	v_mul_f64_e32 v[2:3], 0.5, v[2:3]
	s_wait_loadcnt 0x1
	v_mul_f64_e32 v[17:18], v[10:11], v[15:16]
	s_delay_alu instid0(VALU_DEP_2) | instskip(SKIP_1) | instid1(VALU_DEP_3)
	v_fma_f64 v[23:24], v[19:20], v[15:16], v[2:3]
	v_fma_f64 v[2:3], v[19:20], v[15:16], -v[2:3]
	v_fma_f64 v[15:16], v[0:1], 0.5, v[17:18]
	v_fma_f64 v[0:1], v[0:1], 0.5, -v[17:18]
	s_delay_alu instid0(VALU_DEP_4) | instskip(NEXT) | instid1(VALU_DEP_4)
	v_fma_f64 v[17:18], -v[13:14], v[10:11], v[23:24]
	v_fma_f64 v[2:3], -v[13:14], v[10:11], v[2:3]
	s_delay_alu instid0(VALU_DEP_4) | instskip(NEXT) | instid1(VALU_DEP_4)
	v_fma_f64 v[10:11], v[19:20], v[13:14], v[15:16]
	v_fma_f64 v[0:1], -v[19:20], v[13:14], v[0:1]
	global_load_b128 v[13:16], v[21:22], off offset:4352
	ds_store_2addr_b64 v25, v[10:11], v[17:18] offset0:16 offset1:17
	ds_store_b128 v12, v[0:3] offset:15232
	ds_load_b128 v[0:3], v146 offset:3264
	ds_load_b128 v[17:20], v12 offset:14144
	s_wait_dscnt 0x0
	v_add_f64_e64 v[10:11], v[0:1], -v[17:18]
	v_add_f64_e32 v[23:24], v[2:3], v[19:20]
	v_add_f64_e64 v[2:3], v[2:3], -v[19:20]
	v_add_f64_e32 v[0:1], v[0:1], v[17:18]
	s_delay_alu instid0(VALU_DEP_4) | instskip(NEXT) | instid1(VALU_DEP_4)
	v_mul_f64_e32 v[10:11], 0.5, v[10:11]
	v_mul_f64_e32 v[19:20], 0.5, v[23:24]
	s_delay_alu instid0(VALU_DEP_4) | instskip(SKIP_1) | instid1(VALU_DEP_3)
	v_mul_f64_e32 v[2:3], 0.5, v[2:3]
	s_wait_loadcnt 0x1
	v_mul_f64_e32 v[17:18], v[10:11], v[8:9]
	s_delay_alu instid0(VALU_DEP_2) | instskip(SKIP_1) | instid1(VALU_DEP_3)
	v_fma_f64 v[23:24], v[19:20], v[8:9], v[2:3]
	v_fma_f64 v[2:3], v[19:20], v[8:9], -v[2:3]
	v_fma_f64 v[8:9], v[0:1], 0.5, v[17:18]
	v_fma_f64 v[0:1], v[0:1], 0.5, -v[17:18]
	s_delay_alu instid0(VALU_DEP_4) | instskip(NEXT) | instid1(VALU_DEP_4)
	v_fma_f64 v[17:18], -v[6:7], v[10:11], v[23:24]
	v_fma_f64 v[2:3], -v[6:7], v[10:11], v[2:3]
	s_delay_alu instid0(VALU_DEP_4) | instskip(NEXT) | instid1(VALU_DEP_4)
	v_fma_f64 v[10:11], v[19:20], v[6:7], v[8:9]
	v_fma_f64 v[0:1], -v[19:20], v[6:7], v[0:1]
	global_load_b128 v[6:9], v[21:22], off offset:5440
	ds_store_2addr_b64 v25, v[10:11], v[17:18] offset0:152 offset1:153
	ds_store_b128 v12, v[0:3] offset:14144
	ds_load_b128 v[0:3], v146 offset:4352
	ds_load_b128 v[17:20], v12 offset:13056
	v_add_nc_u32_e32 v25, 0x1000, v146
	s_wait_dscnt 0x0
	v_add_f64_e64 v[10:11], v[0:1], -v[17:18]
	v_add_f64_e32 v[23:24], v[2:3], v[19:20]
	v_add_f64_e64 v[2:3], v[2:3], -v[19:20]
	v_add_f64_e32 v[0:1], v[0:1], v[17:18]
	s_delay_alu instid0(VALU_DEP_4) | instskip(NEXT) | instid1(VALU_DEP_4)
	v_mul_f64_e32 v[10:11], 0.5, v[10:11]
	v_mul_f64_e32 v[19:20], 0.5, v[23:24]
	s_delay_alu instid0(VALU_DEP_4) | instskip(SKIP_1) | instid1(VALU_DEP_3)
	v_mul_f64_e32 v[2:3], 0.5, v[2:3]
	s_wait_loadcnt 0x1
	v_mul_f64_e32 v[17:18], v[10:11], v[15:16]
	s_delay_alu instid0(VALU_DEP_2) | instskip(SKIP_1) | instid1(VALU_DEP_3)
	v_fma_f64 v[23:24], v[19:20], v[15:16], v[2:3]
	v_fma_f64 v[2:3], v[19:20], v[15:16], -v[2:3]
	v_fma_f64 v[15:16], v[0:1], 0.5, v[17:18]
	v_fma_f64 v[0:1], v[0:1], 0.5, -v[17:18]
	s_delay_alu instid0(VALU_DEP_4) | instskip(NEXT) | instid1(VALU_DEP_4)
	v_fma_f64 v[17:18], -v[13:14], v[10:11], v[23:24]
	v_fma_f64 v[2:3], -v[13:14], v[10:11], v[2:3]
	s_delay_alu instid0(VALU_DEP_4) | instskip(NEXT) | instid1(VALU_DEP_4)
	v_fma_f64 v[10:11], v[19:20], v[13:14], v[15:16]
	v_fma_f64 v[0:1], -v[19:20], v[13:14], v[0:1]
	global_load_b128 v[13:16], v[21:22], off offset:6528
	ds_store_2addr_b64 v25, v[10:11], v[17:18] offset0:32 offset1:33
	ds_store_b128 v12, v[0:3] offset:13056
	ds_load_b128 v[0:3], v146 offset:5440
	ds_load_b128 v[17:20], v12 offset:11968
	s_wait_dscnt 0x0
	v_add_f64_e64 v[10:11], v[0:1], -v[17:18]
	v_add_f64_e32 v[23:24], v[2:3], v[19:20]
	v_add_f64_e64 v[2:3], v[2:3], -v[19:20]
	v_add_f64_e32 v[0:1], v[0:1], v[17:18]
	s_delay_alu instid0(VALU_DEP_4) | instskip(NEXT) | instid1(VALU_DEP_4)
	v_mul_f64_e32 v[10:11], 0.5, v[10:11]
	v_mul_f64_e32 v[19:20], 0.5, v[23:24]
	s_delay_alu instid0(VALU_DEP_4) | instskip(SKIP_1) | instid1(VALU_DEP_3)
	v_mul_f64_e32 v[2:3], 0.5, v[2:3]
	s_wait_loadcnt 0x1
	v_mul_f64_e32 v[17:18], v[10:11], v[8:9]
	s_delay_alu instid0(VALU_DEP_2) | instskip(SKIP_1) | instid1(VALU_DEP_3)
	v_fma_f64 v[23:24], v[19:20], v[8:9], v[2:3]
	v_fma_f64 v[2:3], v[19:20], v[8:9], -v[2:3]
	v_fma_f64 v[8:9], v[0:1], 0.5, v[17:18]
	v_fma_f64 v[0:1], v[0:1], 0.5, -v[17:18]
	s_delay_alu instid0(VALU_DEP_4) | instskip(NEXT) | instid1(VALU_DEP_4)
	v_fma_f64 v[17:18], -v[6:7], v[10:11], v[23:24]
	v_fma_f64 v[2:3], -v[6:7], v[10:11], v[2:3]
	s_delay_alu instid0(VALU_DEP_4) | instskip(NEXT) | instid1(VALU_DEP_4)
	v_fma_f64 v[10:11], v[19:20], v[6:7], v[8:9]
	v_fma_f64 v[0:1], -v[19:20], v[6:7], v[0:1]
	global_load_b128 v[6:9], v[21:22], off offset:7616
	ds_store_2addr_b64 v25, v[10:11], v[17:18] offset0:168 offset1:169
	ds_store_b128 v12, v[0:3] offset:11968
	ds_load_b128 v[0:3], v146 offset:6528
	ds_load_b128 v[17:20], v12 offset:10880
	s_wait_dscnt 0x0
	v_add_f64_e64 v[10:11], v[0:1], -v[17:18]
	v_add_f64_e32 v[21:22], v[2:3], v[19:20]
	v_add_f64_e64 v[2:3], v[2:3], -v[19:20]
	v_add_f64_e32 v[0:1], v[0:1], v[17:18]
	s_delay_alu instid0(VALU_DEP_4) | instskip(NEXT) | instid1(VALU_DEP_4)
	v_mul_f64_e32 v[10:11], 0.5, v[10:11]
	v_mul_f64_e32 v[19:20], 0.5, v[21:22]
	s_delay_alu instid0(VALU_DEP_4) | instskip(SKIP_1) | instid1(VALU_DEP_3)
	v_mul_f64_e32 v[2:3], 0.5, v[2:3]
	s_wait_loadcnt 0x1
	v_mul_f64_e32 v[17:18], v[10:11], v[15:16]
	s_delay_alu instid0(VALU_DEP_2) | instskip(SKIP_1) | instid1(VALU_DEP_3)
	v_fma_f64 v[21:22], v[19:20], v[15:16], v[2:3]
	v_fma_f64 v[2:3], v[19:20], v[15:16], -v[2:3]
	v_fma_f64 v[15:16], v[0:1], 0.5, v[17:18]
	v_fma_f64 v[0:1], v[0:1], 0.5, -v[17:18]
	s_delay_alu instid0(VALU_DEP_4) | instskip(NEXT) | instid1(VALU_DEP_4)
	v_fma_f64 v[17:18], -v[13:14], v[10:11], v[21:22]
	v_fma_f64 v[2:3], -v[13:14], v[10:11], v[2:3]
	s_delay_alu instid0(VALU_DEP_4) | instskip(NEXT) | instid1(VALU_DEP_4)
	v_fma_f64 v[10:11], v[19:20], v[13:14], v[15:16]
	v_fma_f64 v[0:1], -v[19:20], v[13:14], v[0:1]
	v_add_nc_u32_e32 v19, 0x1800, v146
	ds_store_2addr_b64 v19, v[10:11], v[17:18] offset0:48 offset1:49
	ds_store_b128 v12, v[0:3] offset:10880
	ds_load_b128 v[0:3], v146 offset:7616
	ds_load_b128 v[13:16], v12 offset:9792
	s_wait_dscnt 0x0
	v_add_f64_e64 v[10:11], v[0:1], -v[13:14]
	v_add_f64_e32 v[17:18], v[2:3], v[15:16]
	v_add_f64_e64 v[2:3], v[2:3], -v[15:16]
	v_add_f64_e32 v[0:1], v[0:1], v[13:14]
	s_delay_alu instid0(VALU_DEP_4) | instskip(NEXT) | instid1(VALU_DEP_4)
	v_mul_f64_e32 v[10:11], 0.5, v[10:11]
	v_mul_f64_e32 v[15:16], 0.5, v[17:18]
	s_delay_alu instid0(VALU_DEP_4) | instskip(SKIP_1) | instid1(VALU_DEP_3)
	v_mul_f64_e32 v[2:3], 0.5, v[2:3]
	s_wait_loadcnt 0x0
	v_mul_f64_e32 v[13:14], v[10:11], v[8:9]
	s_delay_alu instid0(VALU_DEP_2) | instskip(SKIP_1) | instid1(VALU_DEP_3)
	v_fma_f64 v[17:18], v[15:16], v[8:9], v[2:3]
	v_fma_f64 v[2:3], v[15:16], v[8:9], -v[2:3]
	v_fma_f64 v[8:9], v[0:1], 0.5, v[13:14]
	v_fma_f64 v[0:1], v[0:1], 0.5, -v[13:14]
	s_delay_alu instid0(VALU_DEP_4) | instskip(NEXT) | instid1(VALU_DEP_4)
	v_fma_f64 v[13:14], -v[6:7], v[10:11], v[17:18]
	v_fma_f64 v[2:3], -v[6:7], v[10:11], v[2:3]
	s_delay_alu instid0(VALU_DEP_4) | instskip(NEXT) | instid1(VALU_DEP_4)
	v_fma_f64 v[8:9], v[15:16], v[6:7], v[8:9]
	v_fma_f64 v[0:1], -v[15:16], v[6:7], v[0:1]
	ds_store_2addr_b64 v19, v[8:9], v[13:14] offset0:184 offset1:185
	ds_store_b128 v12, v[0:3] offset:9792
	global_wb scope:SCOPE_SE
	s_wait_dscnt 0x0
	s_barrier_signal -1
	s_barrier_wait -1
	global_inv scope:SCOPE_SE
	s_and_saveexec_b32 s0, vcc_lo
	s_cbranch_execz .LBB0_19
; %bb.17:
	v_add_co_u32 v0, vcc_lo, s8, v134
	s_wait_alu 0xfffd
	v_add_co_ci_u32_e32 v1, vcc_lo, s9, v135, vcc_lo
	ds_load_b128 v[6:9], v146
	ds_load_b128 v[10:13], v146 offset:1088
	ds_load_b128 v[14:17], v146 offset:2176
	;; [unrolled: 1-line block ×11, first 2 shown]
	v_add_co_u32 v66, vcc_lo, v0, v4
	s_wait_alu 0xfffd
	v_add_co_ci_u32_e32 v67, vcc_lo, v1, v5, vcc_lo
	ds_load_b128 v[2:5], v146 offset:13056
	ds_load_b128 v[54:57], v146 offset:14144
	;; [unrolled: 1-line block ×4, first 2 shown]
	v_cmp_eq_u32_e32 vcc_lo, 0x43, v68
	s_wait_dscnt 0xf
	global_store_b128 v[66:67], v[6:9], off
	s_wait_dscnt 0xe
	global_store_b128 v[66:67], v[10:13], off offset:1088
	s_wait_dscnt 0xd
	global_store_b128 v[66:67], v[14:17], off offset:2176
	;; [unrolled: 2-line block ×15, first 2 shown]
	s_and_b32 exec_lo, exec_lo, vcc_lo
	s_cbranch_execz .LBB0_19
; %bb.18:
	ds_load_b128 v[2:5], v146 offset:16336
	s_wait_dscnt 0x0
	global_store_b128 v[0:1], v[2:5], off offset:17408
.LBB0_19:
	s_nop 0
	s_sendmsg sendmsg(MSG_DEALLOC_VGPRS)
	s_endpgm
	.section	.rodata,"a",@progbits
	.p2align	6, 0x0
	.amdhsa_kernel fft_rtc_fwd_len1088_factors_17_4_4_2_2_wgs_204_tpt_68_halfLds_dp_ip_CI_unitstride_sbrr_R2C_dirReg
		.amdhsa_group_segment_fixed_size 0
		.amdhsa_private_segment_fixed_size 12
		.amdhsa_kernarg_size 88
		.amdhsa_user_sgpr_count 2
		.amdhsa_user_sgpr_dispatch_ptr 0
		.amdhsa_user_sgpr_queue_ptr 0
		.amdhsa_user_sgpr_kernarg_segment_ptr 1
		.amdhsa_user_sgpr_dispatch_id 0
		.amdhsa_user_sgpr_private_segment_size 0
		.amdhsa_wavefront_size32 1
		.amdhsa_uses_dynamic_stack 0
		.amdhsa_enable_private_segment 1
		.amdhsa_system_sgpr_workgroup_id_x 1
		.amdhsa_system_sgpr_workgroup_id_y 0
		.amdhsa_system_sgpr_workgroup_id_z 0
		.amdhsa_system_sgpr_workgroup_info 0
		.amdhsa_system_vgpr_workitem_id 0
		.amdhsa_next_free_vgpr 255
		.amdhsa_next_free_sgpr 54
		.amdhsa_reserve_vcc 1
		.amdhsa_float_round_mode_32 0
		.amdhsa_float_round_mode_16_64 0
		.amdhsa_float_denorm_mode_32 3
		.amdhsa_float_denorm_mode_16_64 3
		.amdhsa_fp16_overflow 0
		.amdhsa_workgroup_processor_mode 1
		.amdhsa_memory_ordered 1
		.amdhsa_forward_progress 0
		.amdhsa_round_robin_scheduling 0
		.amdhsa_exception_fp_ieee_invalid_op 0
		.amdhsa_exception_fp_denorm_src 0
		.amdhsa_exception_fp_ieee_div_zero 0
		.amdhsa_exception_fp_ieee_overflow 0
		.amdhsa_exception_fp_ieee_underflow 0
		.amdhsa_exception_fp_ieee_inexact 0
		.amdhsa_exception_int_div_zero 0
	.end_amdhsa_kernel
	.text
.Lfunc_end0:
	.size	fft_rtc_fwd_len1088_factors_17_4_4_2_2_wgs_204_tpt_68_halfLds_dp_ip_CI_unitstride_sbrr_R2C_dirReg, .Lfunc_end0-fft_rtc_fwd_len1088_factors_17_4_4_2_2_wgs_204_tpt_68_halfLds_dp_ip_CI_unitstride_sbrr_R2C_dirReg
                                        ; -- End function
	.section	.AMDGPU.csdata,"",@progbits
; Kernel info:
; codeLenInByte = 13576
; NumSgprs: 56
; NumVgprs: 255
; ScratchSize: 12
; MemoryBound: 0
; FloatMode: 240
; IeeeMode: 1
; LDSByteSize: 0 bytes/workgroup (compile time only)
; SGPRBlocks: 6
; VGPRBlocks: 31
; NumSGPRsForWavesPerEU: 56
; NumVGPRsForWavesPerEU: 255
; Occupancy: 5
; WaveLimiterHint : 1
; COMPUTE_PGM_RSRC2:SCRATCH_EN: 1
; COMPUTE_PGM_RSRC2:USER_SGPR: 2
; COMPUTE_PGM_RSRC2:TRAP_HANDLER: 0
; COMPUTE_PGM_RSRC2:TGID_X_EN: 1
; COMPUTE_PGM_RSRC2:TGID_Y_EN: 0
; COMPUTE_PGM_RSRC2:TGID_Z_EN: 0
; COMPUTE_PGM_RSRC2:TIDIG_COMP_CNT: 0
	.text
	.p2alignl 7, 3214868480
	.fill 96, 4, 3214868480
	.type	__hip_cuid_e705713bb4461bbd,@object ; @__hip_cuid_e705713bb4461bbd
	.section	.bss,"aw",@nobits
	.globl	__hip_cuid_e705713bb4461bbd
__hip_cuid_e705713bb4461bbd:
	.byte	0                               ; 0x0
	.size	__hip_cuid_e705713bb4461bbd, 1

	.ident	"AMD clang version 19.0.0git (https://github.com/RadeonOpenCompute/llvm-project roc-6.4.0 25133 c7fe45cf4b819c5991fe208aaa96edf142730f1d)"
	.section	".note.GNU-stack","",@progbits
	.addrsig
	.addrsig_sym __hip_cuid_e705713bb4461bbd
	.amdgpu_metadata
---
amdhsa.kernels:
  - .args:
      - .actual_access:  read_only
        .address_space:  global
        .offset:         0
        .size:           8
        .value_kind:     global_buffer
      - .offset:         8
        .size:           8
        .value_kind:     by_value
      - .actual_access:  read_only
        .address_space:  global
        .offset:         16
        .size:           8
        .value_kind:     global_buffer
      - .actual_access:  read_only
        .address_space:  global
        .offset:         24
        .size:           8
        .value_kind:     global_buffer
      - .offset:         32
        .size:           8
        .value_kind:     by_value
      - .actual_access:  read_only
        .address_space:  global
        .offset:         40
        .size:           8
        .value_kind:     global_buffer
      - .actual_access:  read_only
        .address_space:  global
        .offset:         48
        .size:           8
        .value_kind:     global_buffer
      - .offset:         56
        .size:           4
        .value_kind:     by_value
      - .actual_access:  read_only
        .address_space:  global
        .offset:         64
        .size:           8
        .value_kind:     global_buffer
      - .actual_access:  read_only
        .address_space:  global
        .offset:         72
        .size:           8
        .value_kind:     global_buffer
      - .address_space:  global
        .offset:         80
        .size:           8
        .value_kind:     global_buffer
    .group_segment_fixed_size: 0
    .kernarg_segment_align: 8
    .kernarg_segment_size: 88
    .language:       OpenCL C
    .language_version:
      - 2
      - 0
    .max_flat_workgroup_size: 204
    .name:           fft_rtc_fwd_len1088_factors_17_4_4_2_2_wgs_204_tpt_68_halfLds_dp_ip_CI_unitstride_sbrr_R2C_dirReg
    .private_segment_fixed_size: 12
    .sgpr_count:     56
    .sgpr_spill_count: 0
    .symbol:         fft_rtc_fwd_len1088_factors_17_4_4_2_2_wgs_204_tpt_68_halfLds_dp_ip_CI_unitstride_sbrr_R2C_dirReg.kd
    .uniform_work_group_size: 1
    .uses_dynamic_stack: false
    .vgpr_count:     255
    .vgpr_spill_count: 2
    .wavefront_size: 32
    .workgroup_processor_mode: 1
amdhsa.target:   amdgcn-amd-amdhsa--gfx1201
amdhsa.version:
  - 1
  - 2
...

	.end_amdgpu_metadata
